;; amdgpu-corpus repo=ROCm/rocFFT kind=compiled arch=gfx906 opt=O3
	.text
	.amdgcn_target "amdgcn-amd-amdhsa--gfx906"
	.amdhsa_code_object_version 6
	.protected	bluestein_single_back_len1496_dim1_dp_op_CI_CI ; -- Begin function bluestein_single_back_len1496_dim1_dp_op_CI_CI
	.globl	bluestein_single_back_len1496_dim1_dp_op_CI_CI
	.p2align	8
	.type	bluestein_single_back_len1496_dim1_dp_op_CI_CI,@function
bluestein_single_back_len1496_dim1_dp_op_CI_CI: ; @bluestein_single_back_len1496_dim1_dp_op_CI_CI
; %bb.0:
	s_mov_b64 s[66:67], s[2:3]
	s_mov_b64 s[64:65], s[0:1]
	v_mul_u32_u24_e32 v1, 0x15f, v0
	s_add_u32 s64, s64, s7
	v_add_u32_sdwa v3, s6, v1 dst_sel:DWORD dst_unused:UNUSED_PAD src0_sel:DWORD src1_sel:WORD_1
	s_addc_u32 s65, s65, 0
	v_mov_b32_e32 v2, v3
	buffer_store_dword v2, off, s[64:67], 0 offset:20 ; 4-byte Folded Spill
	s_nop 0
	buffer_store_dword v3, off, s[64:67], 0 offset:24 ; 4-byte Folded Spill
	s_load_dwordx4 s[0:3], s[4:5], 0x28
	v_mov_b32_e32 v4, 0
	s_waitcnt lgkmcnt(0)
	v_cmp_gt_u64_e32 vcc, s[0:1], v[3:4]
	s_and_saveexec_b64 s[0:1], vcc
	s_cbranch_execz .LBB0_23
; %bb.1:
	s_load_dwordx2 s[12:13], s[4:5], 0x0
	s_load_dwordx2 s[14:15], s[4:5], 0x38
	s_movk_i32 s0, 0xbb
	v_mul_lo_u16_sdwa v1, v1, s0 dst_sel:DWORD dst_unused:UNUSED_PAD src0_sel:WORD_1 src1_sel:DWORD
	v_sub_u16_e32 v0, v0, v1
	s_movk_i32 s0, 0x58
	v_cmp_gt_u16_e32 vcc, s0, v0
	v_lshlrev_b32_e32 v255, 4, v0
	buffer_store_dword v0, off, s[64:67], 0 ; 4-byte Folded Spill
	s_and_saveexec_b64 s[6:7], vcc
	s_cbranch_execz .LBB0_3
; %bb.2:
	s_load_dwordx2 s[0:1], s[4:5], 0x18
	s_waitcnt lgkmcnt(0)
	s_load_dwordx4 s[8:11], s[0:1], 0x0
	buffer_load_dword v0, off, s[64:67], 0 offset:20 ; 4-byte Folded Reload
	buffer_load_dword v1, off, s[64:67], 0 offset:24 ; 4-byte Folded Reload
	buffer_load_dword v50, off, s[64:67], 0 ; 4-byte Folded Reload
	s_waitcnt vmcnt(2)
	v_mov_b32_e32 v4, v0
	s_waitcnt vmcnt(1) lgkmcnt(0)
	v_mad_u64_u32 v[0:1], s[0:1], s10, v4, 0
	s_waitcnt vmcnt(0)
	v_mad_u64_u32 v[2:3], s[0:1], s8, v50, 0
	v_or_b32_e32 v133, 0x580, v50
	v_lshlrev_b32_e32 v58, 4, v133
	v_mad_u64_u32 v[4:5], s[0:1], s11, v4, v[1:2]
	v_mad_u64_u32 v[5:6], s[0:1], s9, v50, v[3:4]
	v_mov_b32_e32 v1, v4
	v_lshlrev_b64 v[0:1], 4, v[0:1]
	v_mov_b32_e32 v3, v5
	v_mov_b32_e32 v6, s3
	v_lshlrev_b64 v[2:3], 4, v[2:3]
	v_add_co_u32_e64 v24, s[0:1], s2, v0
	v_addc_co_u32_e64 v25, s[0:1], v6, v1, s[0:1]
	v_add_co_u32_e64 v8, s[0:1], v24, v2
	v_addc_co_u32_e64 v9, s[0:1], v25, v3, s[0:1]
	v_mov_b32_e32 v0, s13
	v_add_co_u32_e64 v26, s[0:1], s12, v255
	v_addc_co_u32_e64 v27, s[0:1], 0, v0, s[0:1]
	s_mul_i32 s0, s9, 0x580
	s_mul_hi_u32 s3, s8, 0x580
	s_add_i32 s3, s3, s0
	s_mul_i32 s2, s8, 0x580
	v_mov_b32_e32 v0, s3
	v_add_co_u32_e64 v10, s[0:1], s2, v8
	v_addc_co_u32_e64 v11, s[0:1], v9, v0, s[0:1]
	global_load_dwordx4 v[0:3], v[8:9], off
	global_load_dwordx4 v[4:7], v[10:11], off
	v_mov_b32_e32 v8, s3
	v_add_co_u32_e64 v28, s[0:1], s2, v10
	v_addc_co_u32_e64 v29, s[0:1], v11, v8, s[0:1]
	v_mov_b32_e32 v16, s3
	v_add_co_u32_e64 v30, s[0:1], s2, v28
	v_addc_co_u32_e64 v31, s[0:1], v29, v16, s[0:1]
	s_movk_i32 s0, 0x1000
	v_add_co_u32_e64 v48, s[0:1], s0, v26
	v_addc_co_u32_e64 v49, s[0:1], 0, v27, s[0:1]
	global_load_dwordx4 v[8:11], v255, s[12:13] offset:1408
	global_load_dwordx4 v[12:15], v255, s[12:13] offset:2816
	global_load_dwordx4 v[16:19], v[28:29], off
	global_load_dwordx4 v[20:23], v[30:31], off
	v_mov_b32_e32 v28, s3
	v_add_co_u32_e64 v40, s[0:1], s2, v30
	v_addc_co_u32_e64 v41, s[0:1], v31, v28, s[0:1]
	v_mov_b32_e32 v42, s3
	v_add_co_u32_e64 v56, s[0:1], s2, v40
	v_addc_co_u32_e64 v57, s[0:1], v41, v42, s[0:1]
	s_movk_i32 s0, 0x2000
	v_add_co_u32_e64 v80, s[0:1], s0, v26
	v_addc_co_u32_e64 v81, s[0:1], 0, v27, s[0:1]
	global_load_dwordx4 v[28:31], v[40:41], off
	global_load_dwordx4 v[32:35], v[48:49], off offset:128
	global_load_dwordx4 v[36:39], v[48:49], off offset:1536
	s_nop 0
	global_load_dwordx4 v[40:43], v[48:49], off offset:2944
	global_load_dwordx4 v[44:47], v[56:57], off
	s_nop 0
	global_load_dwordx4 v[48:51], v255, s[12:13]
	global_load_dwordx4 v[52:55], v58, s[12:13]
	v_mov_b32_e32 v58, s3
	v_add_co_u32_e64 v60, s[0:1], s2, v56
	v_addc_co_u32_e64 v61, s[0:1], v57, v58, s[0:1]
	v_mov_b32_e32 v62, s3
	v_add_co_u32_e64 v72, s[0:1], s2, v60
	v_addc_co_u32_e64 v73, s[0:1], v61, v62, s[0:1]
	;; [unrolled: 3-line block ×3, first 2 shown]
	global_load_dwordx4 v[56:59], v[60:61], off
	s_nop 0
	global_load_dwordx4 v[60:63], v[72:73], off
	global_load_dwordx4 v[64:67], v[80:81], off offset:256
	global_load_dwordx4 v[68:71], v[80:81], off offset:1664
	s_nop 0
	global_load_dwordx4 v[72:75], v[82:83], off
	global_load_dwordx4 v[76:79], v[80:81], off offset:3072
	v_mov_b32_e32 v80, s3
	v_add_co_u32_e64 v84, s[0:1], s2, v82
	v_addc_co_u32_e64 v85, s[0:1], v83, v80, s[0:1]
	s_movk_i32 s0, 0x3000
	v_add_co_u32_e64 v104, s[0:1], s0, v26
	v_addc_co_u32_e64 v105, s[0:1], 0, v27, s[0:1]
	v_mov_b32_e32 v86, s3
	v_add_co_u32_e64 v96, s[0:1], s2, v84
	v_addc_co_u32_e64 v97, s[0:1], v85, v86, s[0:1]
	v_mov_b32_e32 v98, s3
	v_add_co_u32_e64 v106, s[0:1], s2, v96
	v_addc_co_u32_e64 v107, s[0:1], v97, v98, s[0:1]
	global_load_dwordx4 v[80:83], v[84:85], off
	s_nop 0
	global_load_dwordx4 v[84:87], v[96:97], off
	global_load_dwordx4 v[88:91], v[104:105], off offset:384
	global_load_dwordx4 v[92:95], v[104:105], off offset:1792
	s_nop 0
	global_load_dwordx4 v[96:99], v[106:107], off
	global_load_dwordx4 v[100:103], v[104:105], off offset:3200
	v_mov_b32_e32 v104, s3
	v_add_co_u32_e64 v108, s[0:1], s2, v106
	v_addc_co_u32_e64 v109, s[0:1], v107, v104, s[0:1]
	s_movk_i32 s0, 0x4000
	v_add_co_u32_e64 v124, s[0:1], s0, v26
	v_addc_co_u32_e64 v125, s[0:1], 0, v27, s[0:1]
	v_mov_b32_e32 v110, s3
	v_add_co_u32_e64 v120, s[0:1], s2, v108
	v_addc_co_u32_e64 v121, s[0:1], v109, v110, s[0:1]
	v_mov_b32_e32 v122, s3
	v_add_co_u32_e64 v128, s[0:1], s2, v120
	v_addc_co_u32_e64 v129, s[0:1], v121, v122, s[0:1]
	v_mad_u64_u32 v[136:137], s[0:1], s8, v133, 0
	global_load_dwordx4 v[104:107], v[108:109], off
	s_nop 0
	global_load_dwordx4 v[108:111], v[120:121], off
	global_load_dwordx4 v[112:115], v[124:125], off offset:512
	global_load_dwordx4 v[116:119], v[124:125], off offset:1920
	s_nop 0
	global_load_dwordx4 v[120:123], v[128:129], off
	s_nop 0
	global_load_dwordx4 v[124:127], v[124:125], off offset:3328
	v_mov_b32_e32 v130, s3
	v_add_co_u32_e64 v128, s[0:1], s2, v128
	v_mov_b32_e32 v132, v137
	v_addc_co_u32_e64 v129, s[0:1], v129, v130, s[0:1]
	v_mad_u64_u32 v[137:138], s[0:1], s9, v133, v[132:133]
	s_movk_i32 s2, 0x5000
	v_add_co_u32_e64 v26, s[0:1], s2, v26
	v_addc_co_u32_e64 v27, s[0:1], 0, v27, s[0:1]
	global_load_dwordx4 v[132:135], v[26:27], off offset:640
	v_lshlrev_b64 v[26:27], 4, v[136:137]
	global_load_dwordx4 v[128:131], v[128:129], off
	v_add_co_u32_e64 v24, s[0:1], v24, v26
	v_addc_co_u32_e64 v25, s[0:1], v25, v27, s[0:1]
	global_load_dwordx4 v[24:27], v[24:25], off
	s_waitcnt vmcnt(31)
	v_mul_f64 v[138:139], v[6:7], v[10:11]
	v_mul_f64 v[10:11], v[4:5], v[10:11]
	s_waitcnt vmcnt(29)
	v_mul_f64 v[140:141], v[18:19], v[14:15]
	v_mul_f64 v[14:15], v[16:17], v[14:15]
	;; [unrolled: 3-line block ×4, first 2 shown]
	v_mul_f64 v[142:143], v[22:23], v[34:35]
	v_mul_f64 v[34:35], v[20:21], v[34:35]
	;; [unrolled: 1-line block ×4, first 2 shown]
	v_fma_f64 v[4:5], v[4:5], v[8:9], v[138:139]
	v_fma_f64 v[6:7], v[6:7], v[8:9], -v[10:11]
	v_fma_f64 v[8:9], v[16:17], v[12:13], v[140:141]
	v_fma_f64 v[10:11], v[18:19], v[12:13], -v[14:15]
	;; [unrolled: 2-line block ×3, first 2 shown]
	s_waitcnt vmcnt(18)
	v_mul_f64 v[28:29], v[58:59], v[66:67]
	v_mul_f64 v[30:31], v[56:57], v[66:67]
	v_fma_f64 v[0:1], v[0:1], v[48:49], v[136:137]
	v_fma_f64 v[2:3], v[2:3], v[48:49], -v[50:51]
	v_fma_f64 v[12:13], v[20:21], v[32:33], v[142:143]
	v_fma_f64 v[14:15], v[22:23], v[32:33], -v[34:35]
	s_waitcnt vmcnt(17)
	v_mul_f64 v[32:33], v[62:63], v[70:71]
	v_mul_f64 v[34:35], v[60:61], v[70:71]
	s_waitcnt vmcnt(15)
	v_mul_f64 v[36:37], v[74:75], v[78:79]
	v_mul_f64 v[38:39], v[72:73], v[78:79]
	v_fma_f64 v[20:21], v[44:45], v[40:41], v[146:147]
	v_fma_f64 v[22:23], v[46:47], v[40:41], -v[42:43]
	v_fma_f64 v[28:29], v[56:57], v[64:65], v[28:29]
	v_fma_f64 v[30:31], v[58:59], v[64:65], -v[30:31]
	ds_write_b128 v255, v[0:3]
	v_fma_f64 v[0:1], v[60:61], v[68:69], v[32:33]
	v_fma_f64 v[2:3], v[62:63], v[68:69], -v[34:35]
	v_fma_f64 v[32:33], v[72:73], v[76:77], v[36:37]
	v_fma_f64 v[34:35], v[74:75], v[76:77], -v[38:39]
	ds_write_b128 v255, v[4:7] offset:1408
	ds_write_b128 v255, v[8:11] offset:2816
	;; [unrolled: 1-line block ×8, first 2 shown]
	s_waitcnt vmcnt(12)
	v_mul_f64 v[0:1], v[82:83], v[90:91]
	v_mul_f64 v[2:3], v[80:81], v[90:91]
	s_waitcnt vmcnt(11)
	v_mul_f64 v[4:5], v[86:87], v[94:95]
	v_mul_f64 v[6:7], v[84:85], v[94:95]
	;; [unrolled: 3-line block ×3, first 2 shown]
	v_fma_f64 v[0:1], v[80:81], v[88:89], v[0:1]
	v_fma_f64 v[2:3], v[82:83], v[88:89], -v[2:3]
	v_fma_f64 v[4:5], v[84:85], v[92:93], v[4:5]
	v_fma_f64 v[6:7], v[86:87], v[92:93], -v[6:7]
	;; [unrolled: 2-line block ×3, first 2 shown]
	s_waitcnt vmcnt(6)
	v_mul_f64 v[12:13], v[106:107], v[114:115]
	v_mul_f64 v[14:15], v[104:105], v[114:115]
	s_waitcnt vmcnt(5)
	v_mul_f64 v[16:17], v[110:111], v[118:119]
	v_mul_f64 v[18:19], v[108:109], v[118:119]
	;; [unrolled: 3-line block ×3, first 2 shown]
	v_fma_f64 v[12:13], v[104:105], v[112:113], v[12:13]
	v_fma_f64 v[14:15], v[106:107], v[112:113], -v[14:15]
	v_fma_f64 v[16:17], v[108:109], v[116:117], v[16:17]
	v_fma_f64 v[18:19], v[110:111], v[116:117], -v[18:19]
	;; [unrolled: 2-line block ×3, first 2 shown]
	s_waitcnt vmcnt(1)
	v_mul_f64 v[28:29], v[130:131], v[134:135]
	v_mul_f64 v[30:31], v[128:129], v[134:135]
	s_waitcnt vmcnt(0)
	v_mul_f64 v[32:33], v[26:27], v[54:55]
	v_mul_f64 v[34:35], v[24:25], v[54:55]
	v_fma_f64 v[28:29], v[128:129], v[132:133], v[28:29]
	v_fma_f64 v[30:31], v[130:131], v[132:133], -v[30:31]
	v_fma_f64 v[24:25], v[24:25], v[52:53], v[32:33]
	v_fma_f64 v[26:27], v[26:27], v[52:53], -v[34:35]
	ds_write_b128 v255, v[0:3] offset:12672
	ds_write_b128 v255, v[4:7] offset:14080
	;; [unrolled: 1-line block ×8, first 2 shown]
.LBB0_3:
	s_or_b64 exec, exec, s[6:7]
	s_load_dwordx2 s[0:1], s[4:5], 0x20
	s_load_dwordx2 s[2:3], s[4:5], 0x8
	s_waitcnt vmcnt(0) lgkmcnt(0)
	s_barrier
	s_waitcnt lgkmcnt(0)
                                        ; implicit-def: $vgpr24_vgpr25
                                        ; implicit-def: $vgpr72_vgpr73
                                        ; implicit-def: $vgpr80_vgpr81
                                        ; implicit-def: $vgpr28_vgpr29
                                        ; implicit-def: $vgpr32_vgpr33
                                        ; implicit-def: $vgpr36_vgpr37
                                        ; implicit-def: $vgpr40_vgpr41
                                        ; implicit-def: $vgpr44_vgpr45
                                        ; implicit-def: $vgpr48_vgpr49
                                        ; implicit-def: $vgpr56_vgpr57
                                        ; implicit-def: $vgpr60_vgpr61
                                        ; implicit-def: $vgpr64_vgpr65
                                        ; implicit-def: $vgpr68_vgpr69
                                        ; implicit-def: $vgpr52_vgpr53
                                        ; implicit-def: $vgpr88_vgpr89
                                        ; implicit-def: $vgpr84_vgpr85
                                        ; implicit-def: $vgpr76_vgpr77
	s_and_saveexec_b64 s[4:5], vcc
	s_cbranch_execz .LBB0_5
; %bb.4:
	ds_read_b128 v[24:27], v255
	ds_read_b128 v[76:79], v255 offset:1408
	ds_read_b128 v[72:75], v255 offset:2816
	;; [unrolled: 1-line block ×16, first 2 shown]
.LBB0_5:
	s_or_b64 exec, exec, s[4:5]
	s_waitcnt lgkmcnt(0)
	v_add_f64 v[2:3], v[78:79], -v[70:71]
	s_mov_b32 s36, 0x5d8e7cdc
	s_mov_b32 s37, 0xbfd71e95
	v_add_f64 v[0:1], v[76:77], -v[68:69]
	v_add_f64 v[106:107], v[74:75], -v[66:67]
	s_mov_b32 s46, 0x2a9d6da3
	s_mov_b32 s38, 0x7c9e640b
	;; [unrolled: 1-line block ×3, first 2 shown]
	v_mul_f64 v[4:5], v[2:3], s[36:37]
	s_mov_b32 s24, 0x923c349f
	s_mov_b32 s26, 0x6c9a05f6
	;; [unrolled: 1-line block ×9, first 2 shown]
	v_mul_f64 v[6:7], v[0:1], s[36:37]
	buffer_store_dword v4, off, s[64:67], 0 offset:28 ; 4-byte Folded Spill
	s_nop 0
	buffer_store_dword v5, off, s[64:67], 0 offset:32 ; 4-byte Folded Spill
	v_mul_f64 v[8:9], v[2:3], s[46:47]
	v_mul_f64 v[10:11], v[0:1], s[46:47]
	;; [unrolled: 1-line block ×12, first 2 shown]
	v_add_f64 v[104:105], v[72:73], -v[64:65]
	v_mul_f64 v[108:109], v[106:107], s[46:47]
	buffer_store_dword v6, off, s[64:67], 0 offset:44 ; 4-byte Folded Spill
	s_nop 0
	buffer_store_dword v7, off, s[64:67], 0 offset:48 ; 4-byte Folded Spill
	buffer_store_dword v8, off, s[64:67], 0 offset:60 ; 4-byte Folded Spill
	s_nop 0
	buffer_store_dword v9, off, s[64:67], 0 offset:64 ; 4-byte Folded Spill
	;; [unrolled: 3-line block ×13, first 2 shown]
	v_mul_f64 v[114:115], v[104:105], s[46:47]
	buffer_store_dword v108, off, s[64:67], 0 offset:172 ; 4-byte Folded Spill
	s_nop 0
	buffer_store_dword v109, off, s[64:67], 0 offset:176 ; 4-byte Folded Spill
	buffer_store_dword v114, off, s[64:67], 0 offset:188 ; 4-byte Folded Spill
	s_nop 0
	buffer_store_dword v115, off, s[64:67], 0 offset:192 ; 4-byte Folded Spill
	v_add_f64 v[110:111], v[68:69], v[76:77]
	s_mov_b32 s4, 0x370991
	s_mov_b32 s5, 0x3fedd6d0
	v_add_f64 v[112:113], v[70:71], v[78:79]
	v_add_f64 v[120:121], v[72:73], v[64:65]
	s_mov_b32 s20, 0x75d4884
	s_mov_b32 s21, 0x3fe7a5f6
	v_add_f64 v[122:123], v[74:75], v[66:67]
	s_mov_b32 s8, 0x3259b75e
	s_mov_b32 s9, 0x3fb79ee6
	;; [unrolled: 1-line block ×20, first 2 shown]
	v_mul_f64 v[2:3], v[2:3], s[34:35]
	s_mov_b32 s45, 0x3fd71e95
	s_mov_b32 s44, s36
	v_mul_f64 v[0:1], v[0:1], s[34:35]
	v_add_f64 v[152:153], v[60:61], v[84:85]
	v_add_f64 v[154:155], v[62:63], v[86:87]
	s_mov_b32 s43, 0x3fc7851a
	s_mov_b32 s42, s34
	v_fma_f64 v[100:101], v[110:111], s[18:19], -v[2:3]
	v_fma_f64 v[2:3], v[110:111], s[18:19], v[2:3]
	v_add_f64 v[183:184], v[56:57], v[88:89]
	v_fma_f64 v[102:103], v[112:113], s[18:19], v[0:1]
	v_fma_f64 v[0:1], v[112:113], s[18:19], -v[0:1]
	v_add_f64 v[185:186], v[58:59], v[90:91]
	v_fma_f64 v[4:5], v[110:111], s[4:5], v[4:5]
	s_mov_b32 s53, 0x3fe9895b
	v_add_f64 v[100:101], v[24:25], v[100:101]
	v_add_f64 v[2:3], v[24:25], v[2:3]
	s_mov_b32 s52, s26
	v_add_f64 v[102:103], v[26:27], v[102:103]
	v_add_f64 v[0:1], v[26:27], v[0:1]
	;; [unrolled: 1-line block ×5, first 2 shown]
	v_add_f64 v[134:135], v[54:55], -v[46:47]
	v_add_f64 v[241:242], v[44:45], v[52:53]
	v_add_f64 v[132:133], v[52:53], -v[44:45]
	v_add_f64 v[243:244], v[46:47], v[54:55]
	v_add_f64 v[166:167], v[30:31], -v[42:43]
	v_fma_f64 v[6:7], v[112:113], s[4:5], -v[6:7]
	v_fma_f64 v[8:9], v[110:111], s[20:21], v[8:9]
	v_fma_f64 v[10:11], v[112:113], s[20:21], -v[10:11]
	v_fma_f64 v[12:13], v[110:111], s[6:7], v[12:13]
	;; [unrolled: 2-line block ×4, first 2 shown]
	v_add_f64 v[6:7], v[26:27], v[6:7]
	v_add_f64 v[8:9], v[24:25], v[8:9]
	;; [unrolled: 1-line block ×6, first 2 shown]
	v_fma_f64 v[108:109], v[120:121], s[20:21], v[108:109]
	v_add_f64 v[18:19], v[26:27], v[18:19]
	v_add_f64 v[20:21], v[24:25], v[20:21]
	v_fma_f64 v[22:23], v[112:113], s[16:17], -v[22:23]
	v_fma_f64 v[92:93], v[110:111], s[22:23], v[92:93]
	v_fma_f64 v[94:95], v[112:113], s[22:23], -v[94:95]
	v_fma_f64 v[96:97], v[110:111], s[10:11], v[96:97]
	v_fma_f64 v[98:99], v[112:113], s[10:11], -v[98:99]
	v_add_f64 v[4:5], v[108:109], v[4:5]
	v_fma_f64 v[108:109], v[122:123], s[20:21], -v[114:115]
	v_mul_f64 v[114:115], v[104:105], s[40:41]
	v_add_f64 v[22:23], v[26:27], v[22:23]
	v_add_f64 v[92:93], v[24:25], v[92:93]
	v_add_f64 v[94:95], v[26:27], v[94:95]
	v_add_f64 v[96:97], v[24:25], v[96:97]
	v_add_f64 v[98:99], v[26:27], v[98:99]
	v_mul_f64 v[251:252], v[134:135], s[26:27]
	v_add_f64 v[6:7], v[108:109], v[6:7]
	v_mul_f64 v[108:109], v[106:107], s[40:41]
	buffer_store_dword v108, off, s[64:67], 0 offset:204 ; 4-byte Folded Spill
	s_nop 0
	buffer_store_dword v109, off, s[64:67], 0 offset:208 ; 4-byte Folded Spill
	buffer_store_dword v114, off, s[64:67], 0 offset:244 ; 4-byte Folded Spill
	s_nop 0
	buffer_store_dword v115, off, s[64:67], 0 offset:248 ; 4-byte Folded Spill
	v_mul_f64 v[126:127], v[132:133], s[48:49]
	v_mul_f64 v[146:147], v[132:133], s[36:37]
	;; [unrolled: 1-line block ×8, first 2 shown]
	v_add_f64 v[164:165], v[28:29], -v[40:41]
	v_mul_f64 v[180:181], v[166:167], s[52:53]
	v_mul_f64 v[191:192], v[166:167], s[36:37]
	;; [unrolled: 1-line block ×3, first 2 shown]
	v_add_f64 v[225:226], v[34:35], -v[38:39]
	v_add_f64 v[219:220], v[32:33], -v[36:37]
	v_mul_f64 v[142:143], v[164:165], s[30:31]
	v_mul_f64 v[148:149], v[164:165], s[28:29]
	;; [unrolled: 1-line block ×12, first 2 shown]
	v_fma_f64 v[108:109], v[120:121], s[8:9], v[108:109]
	v_add_f64 v[8:9], v[108:109], v[8:9]
	v_fma_f64 v[108:109], v[122:123], s[8:9], -v[114:115]
	v_mul_f64 v[114:115], v[104:105], s[26:27]
	v_add_f64 v[10:11], v[108:109], v[10:11]
	v_mul_f64 v[108:109], v[106:107], s[26:27]
	buffer_store_dword v108, off, s[64:67], 0 offset:252 ; 4-byte Folded Spill
	s_nop 0
	buffer_store_dword v109, off, s[64:67], 0 offset:256 ; 4-byte Folded Spill
	buffer_store_dword v114, off, s[64:67], 0 offset:260 ; 4-byte Folded Spill
	s_nop 0
	buffer_store_dword v115, off, s[64:67], 0 offset:264 ; 4-byte Folded Spill
	v_fma_f64 v[108:109], v[120:121], s[22:23], v[108:109]
	v_add_f64 v[12:13], v[108:109], v[12:13]
	v_fma_f64 v[108:109], v[122:123], s[22:23], -v[114:115]
	v_mul_f64 v[114:115], v[104:105], s[34:35]
	v_add_f64 v[14:15], v[108:109], v[14:15]
	v_mul_f64 v[108:109], v[106:107], s[34:35]
	buffer_store_dword v108, off, s[64:67], 0 offset:268 ; 4-byte Folded Spill
	s_nop 0
	buffer_store_dword v109, off, s[64:67], 0 offset:272 ; 4-byte Folded Spill
	buffer_store_dword v114, off, s[64:67], 0 offset:292 ; 4-byte Folded Spill
	s_nop 0
	buffer_store_dword v115, off, s[64:67], 0 offset:296 ; 4-byte Folded Spill
	;; [unrolled: 12-line block ×4, first 2 shown]
	v_fma_f64 v[108:109], v[120:121], s[16:17], v[108:109]
	v_add_f64 v[92:93], v[108:109], v[92:93]
	v_fma_f64 v[108:109], v[122:123], s[16:17], -v[114:115]
	v_mul_f64 v[114:115], v[104:105], s[28:29]
	v_mul_f64 v[104:105], v[104:105], s[44:45]
	v_add_f64 v[94:95], v[108:109], v[94:95]
	v_mul_f64 v[108:109], v[106:107], s[28:29]
	buffer_store_dword v108, off, s[64:67], 0 offset:356 ; 4-byte Folded Spill
	s_nop 0
	buffer_store_dword v109, off, s[64:67], 0 offset:360 ; 4-byte Folded Spill
	buffer_store_dword v114, off, s[64:67], 0 offset:364 ; 4-byte Folded Spill
	s_nop 0
	buffer_store_dword v115, off, s[64:67], 0 offset:368 ; 4-byte Folded Spill
	v_mul_f64 v[106:107], v[106:107], s[44:45]
	v_fma_f64 v[108:109], v[120:121], s[6:7], v[108:109]
	v_add_f64 v[96:97], v[108:109], v[96:97]
	v_fma_f64 v[108:109], v[122:123], s[6:7], -v[114:115]
	v_add_f64 v[98:99], v[108:109], v[98:99]
	v_fma_f64 v[108:109], v[120:121], s[4:5], -v[106:107]
	v_fma_f64 v[106:107], v[120:121], s[4:5], v[106:107]
	v_add_f64 v[100:101], v[108:109], v[100:101]
	v_fma_f64 v[108:109], v[122:123], s[4:5], v[104:105]
	v_add_f64 v[2:3], v[106:107], v[2:3]
	v_fma_f64 v[104:105], v[122:123], s[4:5], -v[104:105]
	v_add_f64 v[106:107], v[86:87], -v[62:63]
	v_add_f64 v[102:103], v[108:109], v[102:103]
	v_add_f64 v[0:1], v[104:105], v[0:1]
	v_add_f64 v[104:105], v[84:85], -v[60:61]
	v_mul_f64 v[108:109], v[106:107], s[38:39]
	buffer_store_dword v108, off, s[64:67], 0 offset:276 ; 4-byte Folded Spill
	s_nop 0
	buffer_store_dword v109, off, s[64:67], 0 offset:280 ; 4-byte Folded Spill
	v_mul_f64 v[114:115], v[104:105], s[38:39]
	buffer_store_dword v114, off, s[64:67], 0 offset:284 ; 4-byte Folded Spill
	s_nop 0
	buffer_store_dword v115, off, s[64:67], 0 offset:288 ; 4-byte Folded Spill
	v_fma_f64 v[108:109], v[152:153], s[6:7], v[108:109]
	v_add_f64 v[4:5], v[108:109], v[4:5]
	v_fma_f64 v[108:109], v[154:155], s[6:7], -v[114:115]
	v_mul_f64 v[114:115], v[104:105], s[26:27]
	v_add_f64 v[6:7], v[108:109], v[6:7]
	v_mul_f64 v[108:109], v[106:107], s[26:27]
	buffer_store_dword v108, off, s[64:67], 0 offset:300 ; 4-byte Folded Spill
	s_nop 0
	buffer_store_dword v109, off, s[64:67], 0 offset:304 ; 4-byte Folded Spill
	buffer_store_dword v114, off, s[64:67], 0 offset:332 ; 4-byte Folded Spill
	s_nop 0
	buffer_store_dword v115, off, s[64:67], 0 offset:336 ; 4-byte Folded Spill
	v_fma_f64 v[108:109], v[152:153], s[22:23], v[108:109]
	v_add_f64 v[8:9], v[108:109], v[8:9]
	v_fma_f64 v[108:109], v[154:155], s[22:23], -v[114:115]
	v_mul_f64 v[114:115], v[104:105], s[42:43]
	v_add_f64 v[10:11], v[108:109], v[10:11]
	v_mul_f64 v[108:109], v[106:107], s[42:43]
	buffer_store_dword v108, off, s[64:67], 0 offset:348 ; 4-byte Folded Spill
	s_nop 0
	buffer_store_dword v109, off, s[64:67], 0 offset:352 ; 4-byte Folded Spill
	buffer_store_dword v114, off, s[64:67], 0 offset:372 ; 4-byte Folded Spill
	s_nop 0
	buffer_store_dword v115, off, s[64:67], 0 offset:376 ; 4-byte Folded Spill
	s_mov_b32 s43, 0x3fe58eea
	s_mov_b32 s42, s46
	v_mul_f64 v[203:204], v[166:167], s[42:43]
	v_mul_f64 v[205:206], v[164:165], s[42:43]
	;; [unrolled: 1-line block ×3, first 2 shown]
	v_fma_f64 v[108:109], v[152:153], s[18:19], v[108:109]
	v_add_f64 v[12:13], v[108:109], v[12:13]
	v_fma_f64 v[108:109], v[154:155], s[18:19], -v[114:115]
	v_mul_f64 v[114:115], v[104:105], s[48:49]
	v_add_f64 v[14:15], v[108:109], v[14:15]
	v_mul_f64 v[108:109], v[106:107], s[48:49]
	buffer_store_dword v108, off, s[64:67], 0 offset:396 ; 4-byte Folded Spill
	s_nop 0
	buffer_store_dword v109, off, s[64:67], 0 offset:400 ; 4-byte Folded Spill
	buffer_store_dword v114, off, s[64:67], 0 offset:412 ; 4-byte Folded Spill
	s_nop 0
	buffer_store_dword v115, off, s[64:67], 0 offset:416 ; 4-byte Folded Spill
	v_fma_f64 v[108:109], v[152:153], s[16:17], v[108:109]
	v_add_f64 v[16:17], v[108:109], v[16:17]
	v_fma_f64 v[108:109], v[154:155], s[16:17], -v[114:115]
	v_mul_f64 v[114:115], v[104:105], s[42:43]
	v_add_f64 v[18:19], v[108:109], v[18:19]
	v_mul_f64 v[108:109], v[106:107], s[42:43]
	buffer_store_dword v108, off, s[64:67], 0 offset:420 ; 4-byte Folded Spill
	s_nop 0
	buffer_store_dword v109, off, s[64:67], 0 offset:424 ; 4-byte Folded Spill
	buffer_store_dword v114, off, s[64:67], 0 offset:428 ; 4-byte Folded Spill
	s_nop 0
	buffer_store_dword v115, off, s[64:67], 0 offset:432 ; 4-byte Folded Spill
	;; [unrolled: 12-line block ×3, first 2 shown]
	v_fma_f64 v[108:109], v[152:153], s[4:5], v[108:109]
	v_add_f64 v[92:93], v[108:109], v[92:93]
	v_fma_f64 v[108:109], v[154:155], s[4:5], -v[114:115]
	v_mul_f64 v[114:115], v[104:105], s[40:41]
	v_mul_f64 v[104:105], v[104:105], s[30:31]
	v_add_f64 v[94:95], v[108:109], v[94:95]
	v_mul_f64 v[108:109], v[106:107], s[40:41]
	buffer_store_dword v108, off, s[64:67], 0 offset:460 ; 4-byte Folded Spill
	s_nop 0
	buffer_store_dword v109, off, s[64:67], 0 offset:464 ; 4-byte Folded Spill
	buffer_store_dword v114, off, s[64:67], 0 offset:468 ; 4-byte Folded Spill
	s_nop 0
	buffer_store_dword v115, off, s[64:67], 0 offset:472 ; 4-byte Folded Spill
	v_mul_f64 v[106:107], v[106:107], s[30:31]
	v_fma_f64 v[108:109], v[152:153], s[8:9], v[108:109]
	v_add_f64 v[96:97], v[108:109], v[96:97]
	v_fma_f64 v[108:109], v[154:155], s[8:9], -v[114:115]
	v_add_f64 v[98:99], v[108:109], v[98:99]
	v_fma_f64 v[108:109], v[152:153], s[10:11], -v[106:107]
	v_fma_f64 v[106:107], v[152:153], s[10:11], v[106:107]
	v_add_f64 v[100:101], v[108:109], v[100:101]
	v_fma_f64 v[108:109], v[154:155], s[10:11], v[104:105]
	v_add_f64 v[2:3], v[106:107], v[2:3]
	v_fma_f64 v[104:105], v[154:155], s[10:11], -v[104:105]
	v_add_f64 v[106:107], v[90:91], -v[58:59]
	v_add_f64 v[102:103], v[108:109], v[102:103]
	v_add_f64 v[0:1], v[104:105], v[0:1]
	v_add_f64 v[104:105], v[88:89], -v[56:57]
	v_mul_f64 v[108:109], v[106:107], s[40:41]
	buffer_store_dword v108, off, s[64:67], 0 offset:380 ; 4-byte Folded Spill
	s_nop 0
	buffer_store_dword v109, off, s[64:67], 0 offset:384 ; 4-byte Folded Spill
	v_mul_f64 v[114:115], v[104:105], s[40:41]
	buffer_store_dword v114, off, s[64:67], 0 offset:388 ; 4-byte Folded Spill
	s_nop 0
	buffer_store_dword v115, off, s[64:67], 0 offset:392 ; 4-byte Folded Spill
	v_mul_f64 v[237:238], v[106:107], s[30:31]
	v_mul_f64 v[239:240], v[104:105], s[30:31]
	;; [unrolled: 1-line block ×4, first 2 shown]
	v_fma_f64 v[108:109], v[183:184], s[8:9], v[108:109]
	v_add_f64 v[4:5], v[108:109], v[4:5]
	v_fma_f64 v[108:109], v[185:186], s[8:9], -v[114:115]
	v_mul_f64 v[114:115], v[104:105], s[34:35]
	v_add_f64 v[6:7], v[108:109], v[6:7]
	v_mul_f64 v[108:109], v[106:107], s[34:35]
	buffer_store_dword v108, off, s[64:67], 0 offset:404 ; 4-byte Folded Spill
	s_nop 0
	buffer_store_dword v109, off, s[64:67], 0 offset:408 ; 4-byte Folded Spill
	buffer_store_dword v114, off, s[64:67], 0 offset:444 ; 4-byte Folded Spill
	s_nop 0
	buffer_store_dword v115, off, s[64:67], 0 offset:448 ; 4-byte Folded Spill
	v_fma_f64 v[108:109], v[183:184], s[18:19], v[108:109]
	v_add_f64 v[8:9], v[108:109], v[8:9]
	v_fma_f64 v[108:109], v[185:186], s[18:19], -v[114:115]
	v_mul_f64 v[114:115], v[104:105], s[48:49]
	v_add_f64 v[10:11], v[108:109], v[10:11]
	v_mul_f64 v[108:109], v[106:107], s[48:49]
	buffer_store_dword v108, off, s[64:67], 0 offset:476 ; 4-byte Folded Spill
	s_nop 0
	buffer_store_dword v109, off, s[64:67], 0 offset:480 ; 4-byte Folded Spill
	buffer_store_dword v114, off, s[64:67], 0 offset:500 ; 4-byte Folded Spill
	s_nop 0
	buffer_store_dword v115, off, s[64:67], 0 offset:504 ; 4-byte Folded Spill
	v_fma_f64 v[108:109], v[183:184], s[16:17], v[108:109]
	v_add_f64 v[12:13], v[108:109], v[12:13]
	v_fma_f64 v[108:109], v[185:186], s[16:17], -v[114:115]
	v_mul_f64 v[114:115], v[104:105], s[44:45]
	v_add_f64 v[14:15], v[108:109], v[14:15]
	v_mul_f64 v[108:109], v[106:107], s[44:45]
	buffer_store_dword v108, off, s[64:67], 0 offset:516 ; 4-byte Folded Spill
	s_nop 0
	buffer_store_dword v109, off, s[64:67], 0 offset:520 ; 4-byte Folded Spill
	buffer_store_dword v114, off, s[64:67], 0 offset:524 ; 4-byte Folded Spill
	s_nop 0
	buffer_store_dword v115, off, s[64:67], 0 offset:528 ; 4-byte Folded Spill
	v_fma_f64 v[108:109], v[183:184], s[4:5], v[108:109]
	v_add_f64 v[16:17], v[108:109], v[16:17]
	v_fma_f64 v[108:109], v[185:186], s[4:5], -v[114:115]
	v_mul_f64 v[114:115], v[104:105], s[38:39]
	v_mul_f64 v[104:105], v[104:105], s[42:43]
	v_add_f64 v[18:19], v[108:109], v[18:19]
	v_mul_f64 v[108:109], v[106:107], s[38:39]
	buffer_store_dword v108, off, s[64:67], 0 offset:532 ; 4-byte Folded Spill
	s_nop 0
	buffer_store_dword v109, off, s[64:67], 0 offset:536 ; 4-byte Folded Spill
	buffer_store_dword v114, off, s[64:67], 0 offset:548 ; 4-byte Folded Spill
	s_nop 0
	buffer_store_dword v115, off, s[64:67], 0 offset:552 ; 4-byte Folded Spill
	v_mul_f64 v[106:107], v[106:107], s[42:43]
	v_fma_f64 v[108:109], v[183:184], s[6:7], v[108:109]
	v_add_f64 v[20:21], v[108:109], v[20:21]
	v_fma_f64 v[108:109], v[185:186], s[6:7], -v[114:115]
	v_add_f64 v[22:23], v[108:109], v[22:23]
	v_fma_f64 v[108:109], v[183:184], s[10:11], v[237:238]
	v_add_f64 v[92:93], v[108:109], v[92:93]
	v_fma_f64 v[108:109], v[185:186], s[10:11], -v[239:240]
	v_add_f64 v[94:95], v[108:109], v[94:95]
	;; [unrolled: 4-line block ×3, first 2 shown]
	v_fma_f64 v[108:109], v[183:184], s[20:21], -v[106:107]
	v_fma_f64 v[106:107], v[183:184], s[20:21], v[106:107]
	v_add_f64 v[100:101], v[108:109], v[100:101]
	v_fma_f64 v[108:109], v[185:186], s[20:21], v[104:105]
	v_add_f64 v[2:3], v[106:107], v[2:3]
	v_fma_f64 v[104:105], v[185:186], s[20:21], -v[104:105]
	v_add_f64 v[106:107], v[82:83], -v[50:51]
	v_add_f64 v[102:103], v[108:109], v[102:103]
	v_add_f64 v[0:1], v[104:105], v[0:1]
	v_add_f64 v[104:105], v[80:81], -v[48:49]
	v_mul_f64 v[108:109], v[106:107], s[24:25]
	buffer_store_dword v108, off, s[64:67], 0 offset:484 ; 4-byte Folded Spill
	s_nop 0
	buffer_store_dword v109, off, s[64:67], 0 offset:488 ; 4-byte Folded Spill
	v_mul_f64 v[114:115], v[104:105], s[24:25]
	buffer_store_dword v114, off, s[64:67], 0 offset:492 ; 4-byte Folded Spill
	s_nop 0
	buffer_store_dword v115, off, s[64:67], 0 offset:496 ; 4-byte Folded Spill
	v_mul_f64 v[247:248], v[106:107], s[42:43]
	v_mul_f64 v[253:254], v[104:105], s[42:43]
	;; [unrolled: 1-line block ×6, first 2 shown]
	v_fma_f64 v[108:109], v[215:216], s[16:17], v[108:109]
	v_add_f64 v[4:5], v[108:109], v[4:5]
	v_fma_f64 v[108:109], v[217:218], s[16:17], -v[114:115]
	v_mul_f64 v[114:115], v[104:105], s[50:51]
	v_add_f64 v[6:7], v[108:109], v[6:7]
	v_mul_f64 v[108:109], v[106:107], s[50:51]
	buffer_store_dword v108, off, s[64:67], 0 offset:508 ; 4-byte Folded Spill
	s_nop 0
	buffer_store_dword v109, off, s[64:67], 0 offset:512 ; 4-byte Folded Spill
	buffer_store_dword v114, off, s[64:67], 0 offset:540 ; 4-byte Folded Spill
	s_nop 0
	buffer_store_dword v115, off, s[64:67], 0 offset:544 ; 4-byte Folded Spill
	v_fma_f64 v[108:109], v[215:216], s[10:11], v[108:109]
	v_add_f64 v[8:9], v[108:109], v[8:9]
	v_fma_f64 v[108:109], v[217:218], s[10:11], -v[114:115]
	v_mul_f64 v[114:115], v[104:105], s[38:39]
	v_add_f64 v[10:11], v[108:109], v[10:11]
	v_fma_f64 v[108:109], v[215:216], s[20:21], v[247:248]
	v_add_f64 v[12:13], v[108:109], v[12:13]
	v_fma_f64 v[108:109], v[217:218], s[20:21], -v[253:254]
	v_add_f64 v[14:15], v[108:109], v[14:15]
	v_mul_f64 v[108:109], v[106:107], s[38:39]
	s_mov_b32 s39, 0x3fefdd0d
	s_mov_b32 s38, s40
	v_mul_f64 v[128:129], v[106:107], s[38:39]
	v_mul_f64 v[130:131], v[104:105], s[38:39]
	;; [unrolled: 1-line block ×5, first 2 shown]
	v_fma_f64 v[116:117], v[215:216], s[6:7], v[108:109]
	v_mul_f64 v[162:163], v[132:133], s[38:39]
	v_add_f64 v[16:17], v[116:117], v[16:17]
	v_fma_f64 v[116:117], v[217:218], s[6:7], -v[114:115]
	v_add_f64 v[18:19], v[116:117], v[18:19]
	v_fma_f64 v[116:117], v[215:216], s[18:19], v[118:119]
	v_add_f64 v[20:21], v[116:117], v[20:21]
	v_fma_f64 v[116:117], v[217:218], s[18:19], -v[124:125]
	v_add_f64 v[22:23], v[116:117], v[22:23]
	v_fma_f64 v[116:117], v[215:216], s[8:9], v[128:129]
	;; [unrolled: 4-line block ×3, first 2 shown]
	v_add_f64 v[96:97], v[116:117], v[96:97]
	v_fma_f64 v[116:117], v[217:218], s[4:5], -v[138:139]
	v_add_f64 v[98:99], v[116:117], v[98:99]
	v_fma_f64 v[116:117], v[215:216], s[22:23], -v[106:107]
	v_fma_f64 v[106:107], v[215:216], s[22:23], v[106:107]
	v_add_f64 v[100:101], v[116:117], v[100:101]
	v_fma_f64 v[116:117], v[217:218], s[22:23], v[104:105]
	v_fma_f64 v[104:105], v[217:218], s[22:23], -v[104:105]
	v_add_f64 v[2:3], v[106:107], v[2:3]
	v_fma_f64 v[106:107], v[241:242], s[22:23], v[251:252]
	v_add_f64 v[102:103], v[116:117], v[102:103]
	v_add_f64 v[0:1], v[104:105], v[0:1]
	v_mul_f64 v[104:105], v[132:133], s[26:27]
	v_add_f64 v[4:5], v[106:107], v[4:5]
	v_mul_f64 v[132:133], v[132:133], s[28:29]
	v_fma_f64 v[106:107], v[243:244], s[22:23], -v[104:105]
	v_add_f64 v[6:7], v[106:107], v[6:7]
	v_mul_f64 v[106:107], v[134:135], s[48:49]
	v_fma_f64 v[116:117], v[241:242], s[16:17], v[106:107]
	v_add_f64 v[8:9], v[116:117], v[8:9]
	v_fma_f64 v[116:117], v[243:244], s[16:17], -v[126:127]
	v_add_f64 v[10:11], v[116:117], v[10:11]
	v_mul_f64 v[116:117], v[134:135], s[36:37]
	v_mul_f64 v[134:135], v[134:135], s[28:29]
	v_fma_f64 v[140:141], v[241:242], s[4:5], v[116:117]
	v_add_f64 v[12:13], v[140:141], v[12:13]
	v_fma_f64 v[140:141], v[243:244], s[4:5], -v[146:147]
	v_add_f64 v[14:15], v[140:141], v[14:15]
	v_fma_f64 v[140:141], v[241:242], s[10:11], v[156:157]
	v_add_f64 v[16:17], v[140:141], v[16:17]
	v_fma_f64 v[140:141], v[243:244], s[10:11], -v[158:159]
	v_add_f64 v[18:19], v[140:141], v[18:19]
	;; [unrolled: 4-line block ×5, first 2 shown]
	v_fma_f64 v[140:141], v[241:242], s[6:7], -v[134:135]
	v_fma_f64 v[134:135], v[241:242], s[6:7], v[134:135]
	v_add_f64 v[100:101], v[140:141], v[100:101]
	v_fma_f64 v[140:141], v[243:244], s[6:7], v[132:133]
	v_fma_f64 v[132:133], v[243:244], s[6:7], -v[132:133]
	v_add_f64 v[2:3], v[134:135], v[2:3]
	v_add_f64 v[134:135], v[30:31], v[42:43]
	;; [unrolled: 1-line block ×5, first 2 shown]
	v_mul_f64 v[140:141], v[166:167], s[30:31]
	v_fma_f64 v[144:145], v[132:133], s[10:11], v[140:141]
	v_add_f64 v[4:5], v[144:145], v[4:5]
	v_fma_f64 v[144:145], v[134:135], s[10:11], -v[142:143]
	v_add_f64 v[6:7], v[144:145], v[6:7]
	v_mul_f64 v[144:145], v[166:167], s[28:29]
	v_fma_f64 v[150:151], v[132:133], s[6:7], v[144:145]
	v_add_f64 v[8:9], v[150:151], v[8:9]
	v_fma_f64 v[150:151], v[134:135], s[6:7], -v[148:149]
	v_add_f64 v[10:11], v[150:151], v[10:11]
	v_mul_f64 v[150:151], v[166:167], s[40:41]
	v_mul_f64 v[166:167], v[166:167], s[24:25]
	v_fma_f64 v[176:177], v[132:133], s[8:9], v[150:151]
	v_add_f64 v[211:212], v[176:177], v[12:13]
	v_fma_f64 v[12:13], v[134:135], s[8:9], -v[172:173]
	v_mul_f64 v[176:177], v[225:226], s[34:35]
	v_add_f64 v[213:214], v[12:13], v[14:15]
	v_fma_f64 v[12:13], v[132:133], s[22:23], v[180:181]
	v_fma_f64 v[14:15], v[134:135], s[22:23], -v[189:190]
	v_add_f64 v[12:13], v[12:13], v[16:17]
	v_fma_f64 v[16:17], v[132:133], s[4:5], v[191:192]
	v_add_f64 v[14:15], v[14:15], v[18:19]
	v_fma_f64 v[18:19], v[134:135], s[4:5], -v[193:194]
	v_add_f64 v[16:17], v[16:17], v[20:21]
	v_fma_f64 v[20:21], v[132:133], s[18:19], v[197:198]
	v_add_f64 v[18:19], v[18:19], v[22:23]
	;; [unrolled: 4-line block ×3, first 2 shown]
	v_fma_f64 v[94:95], v[134:135], s[20:21], -v[205:206]
	v_add_f64 v[92:93], v[92:93], v[96:97]
	v_fma_f64 v[96:97], v[132:133], s[16:17], -v[166:167]
	v_add_f64 v[94:95], v[94:95], v[98:99]
	v_fma_f64 v[98:99], v[134:135], s[16:17], v[164:165]
	v_add_f64 v[96:97], v[96:97], v[100:101]
	v_fma_f64 v[100:101], v[132:133], s[16:17], v[166:167]
	v_add_f64 v[166:167], v[34:35], v[38:39]
	v_add_f64 v[98:99], v[98:99], v[102:103]
	;; [unrolled: 1-line block ×3, first 2 shown]
	v_fma_f64 v[2:3], v[134:135], s[16:17], -v[164:165]
	v_add_f64 v[164:165], v[32:33], v[36:37]
	v_add_f64 v[102:103], v[2:3], v[0:1]
	v_fma_f64 v[0:1], v[164:165], s[18:19], v[176:177]
	v_fma_f64 v[2:3], v[166:167], s[18:19], -v[178:179]
	v_add_f64 v[0:1], v[0:1], v[4:5]
	v_fma_f64 v[4:5], v[164:165], s[4:5], v[195:196]
	v_add_f64 v[2:3], v[2:3], v[6:7]
	v_fma_f64 v[6:7], v[166:167], s[4:5], -v[201:202]
	v_add_f64 v[221:222], v[4:5], v[8:9]
	v_fma_f64 v[8:9], v[164:165], s[10:11], v[207:208]
	v_add_f64 v[223:224], v[6:7], v[10:11]
	v_fma_f64 v[10:11], v[166:167], s[10:11], -v[209:210]
	v_mov_b32_e32 v6, v3
	v_mov_b32_e32 v5, v2
	;; [unrolled: 1-line block ×4, first 2 shown]
	v_add_f64 v[227:228], v[8:9], v[211:212]
	v_mul_f64 v[211:212], v[225:226], s[42:43]
	v_add_f64 v[229:230], v[10:11], v[213:214]
	v_mov_b32_e32 v7, v221
	v_mov_b32_e32 v8, v222
	v_mov_b32_e32 v9, v223
	v_mov_b32_e32 v10, v224
	v_mul_f64 v[213:214], v[219:220], s[42:43]
	v_mul_f64 v[223:224], v[219:220], s[26:27]
	v_fma_f64 v[221:222], v[164:165], s[20:21], v[211:212]
	v_add_f64 v[11:12], v[221:222], v[12:13]
	v_fma_f64 v[221:222], v[166:167], s[20:21], -v[213:214]
	v_add_f64 v[13:14], v[221:222], v[14:15]
	v_mul_f64 v[221:222], v[225:226], s[26:27]
	buffer_store_dword v11, off, s[64:67], 0 offset:4 ; 4-byte Folded Spill
	s_nop 0
	buffer_store_dword v12, off, s[64:67], 0 offset:8 ; 4-byte Folded Spill
	buffer_store_dword v13, off, s[64:67], 0 offset:12 ; 4-byte Folded Spill
	;; [unrolled: 1-line block ×3, first 2 shown]
	v_mov_b32_e32 v11, v227
	v_mov_b32_e32 v12, v228
	v_mov_b32_e32 v13, v229
	v_mov_b32_e32 v14, v230
	v_fma_f64 v[227:228], v[164:165], s[22:23], v[221:222]
	s_waitcnt vmcnt(0)
	s_barrier
	buffer_load_dword v0, off, s[64:67], 0  ; 4-byte Folded Reload
	v_mul_f64 v[229:230], v[219:220], s[28:29]
	v_mul_f64 v[219:220], v[219:220], s[38:39]
	v_add_f64 v[16:17], v[227:228], v[16:17]
	v_fma_f64 v[227:228], v[166:167], s[22:23], -v[223:224]
	v_add_f64 v[18:19], v[227:228], v[18:19]
	v_mul_f64 v[227:228], v[225:226], s[28:29]
	v_fma_f64 v[231:232], v[164:165], s[6:7], v[227:228]
	v_add_f64 v[20:21], v[231:232], v[20:21]
	v_fma_f64 v[231:232], v[166:167], s[6:7], -v[229:230]
	v_add_f64 v[22:23], v[231:232], v[22:23]
	v_mul_f64 v[231:232], v[225:226], s[24:25]
	v_mul_f64 v[225:226], v[225:226], s[38:39]
	v_fma_f64 v[235:236], v[164:165], s[16:17], v[231:232]
	v_add_f64 v[92:93], v[235:236], v[92:93]
	v_fma_f64 v[235:236], v[166:167], s[16:17], -v[233:234]
	v_add_f64 v[94:95], v[235:236], v[94:95]
	v_fma_f64 v[235:236], v[164:165], s[8:9], -v[225:226]
	v_fma_f64 v[225:226], v[164:165], s[8:9], v[225:226]
	v_add_f64 v[96:97], v[235:236], v[96:97]
	v_fma_f64 v[235:236], v[166:167], s[8:9], v[219:220]
	v_fma_f64 v[219:220], v[166:167], s[8:9], -v[219:220]
	v_add_f64 v[100:101], v[225:226], v[100:101]
	s_waitcnt vmcnt(0)
	v_mul_lo_u16_e32 v15, 17, v0
	v_add_f64 v[98:99], v[235:236], v[98:99]
	v_add_f64 v[102:103], v[219:220], v[102:103]
	s_and_saveexec_b64 s[24:25], vcc
	s_cbranch_execz .LBB0_7
; %bb.6:
	buffer_load_dword v0, off, s[64:67], 0 offset:468 ; 4-byte Folded Reload
	buffer_load_dword v1, off, s[64:67], 0 offset:472 ; 4-byte Folded Reload
	v_add_f64 v[78:79], v[26:27], v[78:79]
	v_add_f64 v[76:77], v[24:25], v[76:77]
	;; [unrolled: 1-line block ×4, first 2 shown]
	v_mul_f64 v[78:79], v[243:244], s[18:19]
	v_add_f64 v[74:75], v[86:87], v[74:75]
	v_mul_f64 v[86:87], v[154:155], s[8:9]
	v_add_f64 v[72:73], v[84:85], v[72:73]
	v_mul_f64 v[84:85], v[185:186], s[22:23]
	v_add_f64 v[78:79], v[187:188], v[78:79]
	v_mul_f64 v[187:188], v[152:153], s[22:23]
	v_add_f64 v[74:75], v[90:91], v[74:75]
	v_mul_f64 v[90:91], v[112:113], s[10:11]
	v_add_f64 v[72:73], v[88:89], v[72:73]
	v_mul_f64 v[88:89], v[122:123], s[6:7]
	v_add_f64 v[84:85], v[249:250], v[84:85]
	v_add_f64 v[76:77], v[82:83], v[74:75]
	v_mul_f64 v[82:83], v[217:218], s[4:5]
	v_mul_f64 v[74:75], v[134:135], s[20:21]
	v_add_f64 v[80:81], v[80:81], v[72:73]
	v_mul_f64 v[72:73], v[166:167], s[16:17]
	v_add_f64 v[54:55], v[54:55], v[76:77]
	v_add_f64 v[82:83], v[138:139], v[82:83]
	v_mul_f64 v[138:139], v[152:153], s[8:9]
	v_add_f64 v[74:75], v[205:206], v[74:75]
	v_add_f64 v[72:73], v[233:234], v[72:73]
	;; [unrolled: 1-line block ×3, first 2 shown]
	v_mul_f64 v[205:206], v[243:244], s[22:23]
	v_add_f64 v[30:31], v[30:31], v[54:55]
	v_add_f64 v[28:29], v[28:29], v[52:53]
	;; [unrolled: 1-line block ×8, first 2 shown]
	s_waitcnt vmcnt(0)
	v_add_f64 v[86:87], v[0:1], v[86:87]
	buffer_load_dword v0, off, s[64:67], 0 offset:364 ; 4-byte Folded Reload
	buffer_load_dword v1, off, s[64:67], 0 offset:368 ; 4-byte Folded Reload
	v_add_f64 v[30:31], v[46:47], v[30:31]
	v_add_f64 v[28:29], v[44:45], v[28:29]
	;; [unrolled: 1-line block ×10, first 2 shown]
	s_waitcnt vmcnt(0)
	v_add_f64 v[88:89], v[0:1], v[88:89]
	buffer_load_dword v0, off, s[64:67], 0 offset:236 ; 4-byte Folded Reload
	buffer_load_dword v1, off, s[64:67], 0 offset:240 ; 4-byte Folded Reload
	s_waitcnt vmcnt(0)
	v_add_f64 v[90:91], v[0:1], v[90:91]
	buffer_load_dword v0, off, s[64:67], 0 offset:460 ; 4-byte Folded Reload
	buffer_load_dword v1, off, s[64:67], 0 offset:464 ; 4-byte Folded Reload
	v_add_f64 v[90:91], v[26:27], v[90:91]
	v_add_f64 v[88:89], v[88:89], v[90:91]
	v_mul_f64 v[90:91], v[110:111], s[10:11]
	v_add_f64 v[86:87], v[86:87], v[88:89]
	v_mul_f64 v[88:89], v[120:121], s[6:7]
	;; [unrolled: 2-line block ×3, first 2 shown]
	v_add_f64 v[82:83], v[82:83], v[84:85]
	v_add_f64 v[86:87], v[86:87], -v[136:137]
	v_mul_f64 v[136:137], v[122:123], s[18:19]
	v_add_f64 v[78:79], v[78:79], v[82:83]
	v_add_f64 v[74:75], v[74:75], v[78:79]
	;; [unrolled: 1-line block ×3, first 2 shown]
	s_waitcnt vmcnt(0)
	v_add_f64 v[138:139], v[138:139], -v[0:1]
	buffer_load_dword v0, off, s[64:67], 0 offset:228 ; 4-byte Folded Reload
	buffer_load_dword v1, off, s[64:67], 0 offset:232 ; 4-byte Folded Reload
	s_waitcnt vmcnt(0)
	v_add_f64 v[90:91], v[90:91], -v[0:1]
	buffer_load_dword v0, off, s[64:67], 0 offset:356 ; 4-byte Folded Reload
	buffer_load_dword v1, off, s[64:67], 0 offset:360 ; 4-byte Folded Reload
	v_add_f64 v[90:91], v[24:25], v[90:91]
	s_waitcnt vmcnt(0)
	v_add_f64 v[88:89], v[88:89], -v[0:1]
	buffer_load_dword v0, off, s[64:67], 0 offset:452 ; 4-byte Folded Reload
	buffer_load_dword v1, off, s[64:67], 0 offset:456 ; 4-byte Folded Reload
	v_add_f64 v[88:89], v[88:89], v[90:91]
	v_mul_f64 v[90:91], v[183:184], s[22:23]
	v_add_f64 v[88:89], v[138:139], v[88:89]
	v_add_f64 v[90:91], v[90:91], -v[245:246]
	v_mul_f64 v[138:139], v[110:111], s[8:9]
	v_add_f64 v[88:89], v[90:91], v[88:89]
	v_mul_f64 v[90:91], v[241:242], s[18:19]
	v_add_f64 v[84:85], v[86:87], v[88:89]
	v_add_f64 v[90:91], v[90:91], -v[174:175]
	v_mul_f64 v[86:87], v[132:133], s[20:21]
	v_mul_f64 v[88:89], v[120:121], s[16:17]
	;; [unrolled: 1-line block ×3, first 2 shown]
	v_add_f64 v[82:83], v[90:91], v[84:85]
	v_add_f64 v[86:87], v[86:87], -v[203:204]
	v_mul_f64 v[84:85], v[164:165], s[16:17]
	v_mul_f64 v[203:204], v[217:218], s[10:11]
	v_add_f64 v[78:79], v[86:87], v[82:83]
	v_add_f64 v[84:85], v[84:85], -v[231:232]
	v_mul_f64 v[82:83], v[112:113], s[22:23]
	v_mul_f64 v[86:87], v[110:111], s[22:23]
	v_add_f64 v[72:73], v[84:85], v[78:79]
	v_mul_f64 v[78:79], v[154:155], s[4:5]
	v_mul_f64 v[84:85], v[122:123], s[16:17]
	s_waitcnt vmcnt(0)
	v_add_f64 v[78:79], v[0:1], v[78:79]
	buffer_load_dword v0, off, s[64:67], 0 offset:220 ; 4-byte Folded Reload
	buffer_load_dword v1, off, s[64:67], 0 offset:224 ; 4-byte Folded Reload
	s_waitcnt vmcnt(0)
	v_add_f64 v[82:83], v[0:1], v[82:83]
	buffer_load_dword v0, off, s[64:67], 0 offset:340 ; 4-byte Folded Reload
	buffer_load_dword v1, off, s[64:67], 0 offset:344 ; 4-byte Folded Reload
	v_add_f64 v[82:83], v[26:27], v[82:83]
	s_waitcnt vmcnt(0)
	v_add_f64 v[84:85], v[0:1], v[84:85]
	buffer_load_dword v0, off, s[64:67], 0 offset:436 ; 4-byte Folded Reload
	buffer_load_dword v1, off, s[64:67], 0 offset:440 ; 4-byte Folded Reload
	v_add_f64 v[82:83], v[84:85], v[82:83]
	v_mul_f64 v[84:85], v[185:186], s[10:11]
	v_add_f64 v[78:79], v[78:79], v[82:83]
	v_add_f64 v[84:85], v[239:240], v[84:85]
	v_mul_f64 v[82:83], v[217:218], s[8:9]
	v_add_f64 v[78:79], v[84:85], v[78:79]
	v_add_f64 v[82:83], v[130:131], v[82:83]
	v_mul_f64 v[84:85], v[243:244], s[20:21]
	v_mul_f64 v[130:131], v[120:121], s[10:11]
	v_add_f64 v[78:79], v[82:83], v[78:79]
	v_add_f64 v[84:85], v[170:171], v[84:85]
	v_mul_f64 v[82:83], v[134:135], s[18:19]
	v_mul_f64 v[170:171], v[215:216], s[20:21]
	v_add_f64 v[78:79], v[84:85], v[78:79]
	v_add_f64 v[82:83], v[199:200], v[82:83]
	v_mul_f64 v[84:85], v[166:167], s[6:7]
	v_mul_f64 v[199:200], v[215:216], s[10:11]
	v_add_f64 v[170:171], v[170:171], -v[247:248]
	v_add_f64 v[78:79], v[82:83], v[78:79]
	v_mul_f64 v[82:83], v[152:153], s[4:5]
	v_add_f64 v[84:85], v[229:230], v[84:85]
	v_add_f64 v[78:79], v[84:85], v[78:79]
	s_waitcnt vmcnt(0)
	v_add_f64 v[82:83], v[82:83], -v[0:1]
	buffer_load_dword v0, off, s[64:67], 0 offset:212 ; 4-byte Folded Reload
	buffer_load_dword v1, off, s[64:67], 0 offset:216 ; 4-byte Folded Reload
	s_waitcnt vmcnt(0)
	v_add_f64 v[86:87], v[86:87], -v[0:1]
	buffer_load_dword v0, off, s[64:67], 0 offset:324 ; 4-byte Folded Reload
	buffer_load_dword v1, off, s[64:67], 0 offset:328 ; 4-byte Folded Reload
	v_add_f64 v[86:87], v[24:25], v[86:87]
	s_waitcnt vmcnt(0)
	v_add_f64 v[88:89], v[88:89], -v[0:1]
	buffer_load_dword v0, off, s[64:67], 0 offset:428 ; 4-byte Folded Reload
	buffer_load_dword v1, off, s[64:67], 0 offset:432 ; 4-byte Folded Reload
	v_add_f64 v[86:87], v[88:89], v[86:87]
	v_mul_f64 v[88:89], v[183:184], s[10:11]
	v_add_f64 v[82:83], v[82:83], v[86:87]
	v_add_f64 v[88:89], v[88:89], -v[237:238]
	v_mul_f64 v[86:87], v[215:216], s[8:9]
	v_add_f64 v[82:83], v[88:89], v[82:83]
	v_add_f64 v[86:87], v[86:87], -v[128:129]
	v_mul_f64 v[88:89], v[241:242], s[20:21]
	v_mul_f64 v[128:129], v[122:123], s[10:11]
	v_add_f64 v[82:83], v[86:87], v[82:83]
	v_add_f64 v[88:89], v[88:89], -v[168:169]
	v_mul_f64 v[86:87], v[132:133], s[18:19]
	;; [unrolled: 4-line block ×3, first 2 shown]
	v_mul_f64 v[88:89], v[164:165], s[6:7]
	v_add_f64 v[90:91], v[86:87], v[82:83]
	v_mul_f64 v[82:83], v[154:155], s[20:21]
	v_mul_f64 v[86:87], v[112:113], s[16:17]
	v_add_f64 v[88:89], v[88:89], -v[227:228]
	s_waitcnt vmcnt(0)
	v_add_f64 v[82:83], v[0:1], v[82:83]
	buffer_load_dword v0, off, s[64:67], 0 offset:196 ; 4-byte Folded Reload
	buffer_load_dword v1, off, s[64:67], 0 offset:200 ; 4-byte Folded Reload
	s_waitcnt vmcnt(0)
	v_add_f64 v[86:87], v[0:1], v[86:87]
	buffer_load_dword v0, off, s[64:67], 0 offset:316 ; 4-byte Folded Reload
	buffer_load_dword v1, off, s[64:67], 0 offset:320 ; 4-byte Folded Reload
	v_add_f64 v[86:87], v[26:27], v[86:87]
	s_waitcnt vmcnt(0)
	v_add_f64 v[128:129], v[0:1], v[128:129]
	buffer_load_dword v0, off, s[64:67], 0 offset:548 ; 4-byte Folded Reload
	buffer_load_dword v1, off, s[64:67], 0 offset:552 ; 4-byte Folded Reload
	v_add_f64 v[86:87], v[128:129], v[86:87]
	v_mul_f64 v[128:129], v[185:186], s[6:7]
	v_add_f64 v[82:83], v[82:83], v[86:87]
	v_mul_f64 v[86:87], v[217:218], s[18:19]
	;; [unrolled: 2-line block ×6, first 2 shown]
	s_waitcnt vmcnt(0)
	v_add_f64 v[128:129], v[0:1], v[128:129]
	buffer_load_dword v0, off, s[64:67], 0 offset:420 ; 4-byte Folded Reload
	buffer_load_dword v1, off, s[64:67], 0 offset:424 ; 4-byte Folded Reload
	v_add_f64 v[82:83], v[128:129], v[82:83]
	v_mul_f64 v[128:129], v[110:111], s[16:17]
	v_add_f64 v[82:83], v[86:87], v[82:83]
	v_mul_f64 v[86:87], v[134:135], s[4:5]
	v_add_f64 v[82:83], v[124:125], v[82:83]
	v_add_f64 v[86:87], v[193:194], v[86:87]
	v_mul_f64 v[124:125], v[166:167], s[22:23]
	v_mul_f64 v[193:194], v[215:216], s[16:17]
	v_add_f64 v[82:83], v[86:87], v[82:83]
	v_mul_f64 v[86:87], v[152:153], s[20:21]
	v_add_f64 v[124:125], v[223:224], v[124:125]
	v_add_f64 v[82:83], v[124:125], v[82:83]
	s_waitcnt vmcnt(0)
	v_add_f64 v[86:87], v[86:87], -v[0:1]
	buffer_load_dword v0, off, s[64:67], 0 offset:156 ; 4-byte Folded Reload
	buffer_load_dword v1, off, s[64:67], 0 offset:160 ; 4-byte Folded Reload
	s_waitcnt vmcnt(0)
	v_add_f64 v[128:129], v[128:129], -v[0:1]
	buffer_load_dword v0, off, s[64:67], 0 offset:308 ; 4-byte Folded Reload
	buffer_load_dword v1, off, s[64:67], 0 offset:312 ; 4-byte Folded Reload
	v_add_f64 v[128:129], v[24:25], v[128:129]
	s_waitcnt vmcnt(0)
	v_add_f64 v[130:131], v[130:131], -v[0:1]
	buffer_load_dword v0, off, s[64:67], 0 offset:532 ; 4-byte Folded Reload
	buffer_load_dword v1, off, s[64:67], 0 offset:536 ; 4-byte Folded Reload
	v_add_f64 v[128:129], v[130:131], v[128:129]
	v_mul_f64 v[130:131], v[183:184], s[6:7]
	v_add_f64 v[86:87], v[86:87], v[128:129]
	v_mul_f64 v[128:129], v[215:216], s[18:19]
	v_add_f64 v[118:119], v[128:129], -v[118:119]
	v_mul_f64 v[128:129], v[241:242], s[8:9]
	v_add_f64 v[128:129], v[128:129], -v[160:161]
	;; [unrolled: 2-line block ×3, first 2 shown]
	v_mul_f64 v[180:181], v[154:155], s[6:7]
	s_waitcnt vmcnt(0)
	v_add_f64 v[130:131], v[130:131], -v[0:1]
	buffer_load_dword v0, off, s[64:67], 0 offset:412 ; 4-byte Folded Reload
	buffer_load_dword v1, off, s[64:67], 0 offset:416 ; 4-byte Folded Reload
	v_add_f64 v[86:87], v[130:131], v[86:87]
	v_mul_f64 v[130:131], v[112:113], s[8:9]
	v_add_f64 v[86:87], v[118:119], v[86:87]
	v_mul_f64 v[118:119], v[132:133], s[4:5]
	v_add_f64 v[86:87], v[128:129], v[86:87]
	v_add_f64 v[118:119], v[118:119], -v[191:192]
	v_mul_f64 v[191:192], v[185:186], s[8:9]
	v_mul_f64 v[128:129], v[164:165], s[22:23]
	v_add_f64 v[118:119], v[118:119], v[86:87]
	v_mul_f64 v[86:87], v[154:155], s[16:17]
	v_add_f64 v[128:129], v[128:129], -v[221:222]
	s_waitcnt vmcnt(0)
	v_add_f64 v[86:87], v[0:1], v[86:87]
	buffer_load_dword v0, off, s[64:67], 0 offset:140 ; 4-byte Folded Reload
	buffer_load_dword v1, off, s[64:67], 0 offset:144 ; 4-byte Folded Reload
	s_waitcnt vmcnt(0)
	v_add_f64 v[130:131], v[0:1], v[130:131]
	buffer_load_dword v0, off, s[64:67], 0 offset:292 ; 4-byte Folded Reload
	buffer_load_dword v1, off, s[64:67], 0 offset:296 ; 4-byte Folded Reload
	v_add_f64 v[130:131], v[26:27], v[130:131]
	s_waitcnt vmcnt(0)
	v_add_f64 v[136:137], v[0:1], v[136:137]
	buffer_load_dword v0, off, s[64:67], 0 offset:524 ; 4-byte Folded Reload
	buffer_load_dword v1, off, s[64:67], 0 offset:528 ; 4-byte Folded Reload
	v_add_f64 v[130:131], v[136:137], v[130:131]
	v_mul_f64 v[136:137], v[185:186], s[4:5]
	v_add_f64 v[86:87], v[86:87], v[130:131]
	v_mul_f64 v[130:131], v[217:218], s[6:7]
	v_add_f64 v[114:115], v[114:115], v[130:131]
	v_mul_f64 v[130:131], v[243:244], s[10:11]
	v_add_f64 v[130:131], v[158:159], v[130:131]
	v_mul_f64 v[158:159], v[122:123], s[22:23]
	v_mul_f64 v[122:123], v[122:123], s[8:9]
	s_waitcnt vmcnt(0)
	v_add_f64 v[136:137], v[0:1], v[136:137]
	buffer_load_dword v0, off, s[64:67], 0 offset:396 ; 4-byte Folded Reload
	buffer_load_dword v1, off, s[64:67], 0 offset:400 ; 4-byte Folded Reload
	v_add_f64 v[86:87], v[136:137], v[86:87]
	v_mul_f64 v[136:137], v[152:153], s[16:17]
	v_mul_f64 v[152:153], v[152:153], s[18:19]
	v_add_f64 v[86:87], v[114:115], v[86:87]
	v_mul_f64 v[114:115], v[134:135], s[22:23]
	v_add_f64 v[86:87], v[130:131], v[86:87]
	v_add_f64 v[114:115], v[189:190], v[114:115]
	v_mul_f64 v[189:190], v[183:184], s[8:9]
	v_mul_f64 v[130:131], v[166:167], s[20:21]
	v_add_f64 v[86:87], v[114:115], v[86:87]
	v_mul_f64 v[114:115], v[241:242], s[10:11]
	v_add_f64 v[130:131], v[213:214], v[130:131]
	v_mul_f64 v[213:214], v[241:242], s[4:5]
	v_add_f64 v[114:115], v[114:115], -v[156:157]
	v_mul_f64 v[156:157], v[120:121], s[18:19]
	v_add_f64 v[80:81], v[213:214], -v[116:117]
	v_add_f64 v[86:87], v[130:131], v[86:87]
	s_waitcnt vmcnt(0)
	v_add_f64 v[136:137], v[136:137], -v[0:1]
	buffer_load_dword v0, off, s[64:67], 0 offset:124 ; 4-byte Folded Reload
	buffer_load_dword v1, off, s[64:67], 0 offset:128 ; 4-byte Folded Reload
	s_waitcnt vmcnt(0)
	v_add_f64 v[138:139], v[138:139], -v[0:1]
	buffer_load_dword v0, off, s[64:67], 0 offset:268 ; 4-byte Folded Reload
	buffer_load_dword v1, off, s[64:67], 0 offset:272 ; 4-byte Folded Reload
	v_add_f64 v[138:139], v[24:25], v[138:139]
	s_waitcnt vmcnt(0)
	v_add_f64 v[156:157], v[156:157], -v[0:1]
	buffer_load_dword v0, off, s[64:67], 0 offset:516 ; 4-byte Folded Reload
	buffer_load_dword v1, off, s[64:67], 0 offset:520 ; 4-byte Folded Reload
	v_add_f64 v[138:139], v[156:157], v[138:139]
	v_mul_f64 v[156:157], v[183:184], s[4:5]
	v_add_f64 v[136:137], v[136:137], v[138:139]
	v_mul_f64 v[138:139], v[215:216], s[6:7]
	v_mul_f64 v[215:216], v[134:135], s[10:11]
	;; [unrolled: 1-line block ×3, first 2 shown]
	v_add_f64 v[108:109], v[138:139], -v[108:109]
	v_mul_f64 v[138:139], v[154:155], s[18:19]
	v_mul_f64 v[154:155], v[154:155], s[22:23]
	v_add_f64 v[116:117], v[148:149], v[134:135]
	s_waitcnt vmcnt(0)
	v_add_f64 v[156:157], v[156:157], -v[0:1]
	buffer_load_dword v0, off, s[64:67], 0 offset:372 ; 4-byte Folded Reload
	buffer_load_dword v1, off, s[64:67], 0 offset:376 ; 4-byte Folded Reload
	v_add_f64 v[136:137], v[156:157], v[136:137]
	v_mul_f64 v[156:157], v[112:113], s[6:7]
	v_mul_f64 v[112:113], v[112:113], s[20:21]
	v_add_f64 v[108:109], v[108:109], v[136:137]
	v_mul_f64 v[136:137], v[110:111], s[4:5]
	v_add_f64 v[108:109], v[114:115], v[108:109]
	v_mul_f64 v[114:115], v[110:111], s[20:21]
	v_mul_f64 v[110:111], v[110:111], s[6:7]
	v_add_f64 v[108:109], v[160:161], v[108:109]
	v_mul_f64 v[160:161], v[183:184], s[16:17]
	v_mul_f64 v[182:183], v[183:184], s[18:19]
	s_waitcnt vmcnt(0)
	v_add_f64 v[138:139], v[0:1], v[138:139]
	buffer_load_dword v0, off, s[64:67], 0 offset:108 ; 4-byte Folded Reload
	buffer_load_dword v1, off, s[64:67], 0 offset:112 ; 4-byte Folded Reload
	s_waitcnt vmcnt(0)
	v_add_f64 v[156:157], v[0:1], v[156:157]
	buffer_load_dword v0, off, s[64:67], 0 offset:260 ; 4-byte Folded Reload
	buffer_load_dword v1, off, s[64:67], 0 offset:264 ; 4-byte Folded Reload
	v_add_f64 v[156:157], v[26:27], v[156:157]
	s_waitcnt vmcnt(0)
	v_add_f64 v[158:159], v[0:1], v[158:159]
	buffer_load_dword v0, off, s[64:67], 0 offset:500 ; 4-byte Folded Reload
	buffer_load_dword v1, off, s[64:67], 0 offset:504 ; 4-byte Folded Reload
	v_add_f64 v[156:157], v[158:159], v[156:157]
	v_mul_f64 v[158:159], v[185:186], s[16:17]
	v_mul_f64 v[184:185], v[185:186], s[18:19]
	v_add_f64 v[138:139], v[138:139], v[156:157]
	v_mul_f64 v[156:157], v[217:218], s[20:21]
	v_mul_f64 v[217:218], v[166:167], s[18:19]
	v_add_f64 v[156:157], v[253:254], v[156:157]
	s_waitcnt vmcnt(0)
	v_add_f64 v[158:159], v[0:1], v[158:159]
	buffer_load_dword v0, off, s[64:67], 0 offset:476 ; 4-byte Folded Reload
	buffer_load_dword v1, off, s[64:67], 0 offset:480 ; 4-byte Folded Reload
	v_add_f64 v[138:139], v[158:159], v[138:139]
	v_mul_f64 v[158:159], v[164:165], s[20:21]
	v_add_f64 v[138:139], v[156:157], v[138:139]
	v_mul_f64 v[156:157], v[120:121], s[20:21]
	v_add_f64 v[158:159], v[158:159], -v[211:212]
	v_mul_f64 v[211:212], v[243:244], s[16:17]
	v_add_f64 v[138:139], v[146:147], v[138:139]
	v_mul_f64 v[146:147], v[120:121], s[8:9]
	v_mul_f64 v[120:121], v[120:121], s[22:23]
	v_add_f64 v[126:127], v[126:127], v[211:212]
	v_mul_f64 v[211:212], v[166:167], s[4:5]
	v_mul_f64 v[166:167], v[166:167], s[10:11]
	v_add_f64 v[76:77], v[209:210], v[166:167]
	s_waitcnt vmcnt(0)
	v_add_f64 v[160:161], v[160:161], -v[0:1]
	buffer_load_dword v0, off, s[64:67], 0 offset:92 ; 4-byte Folded Reload
	buffer_load_dword v1, off, s[64:67], 0 offset:96 ; 4-byte Folded Reload
	s_waitcnt vmcnt(0)
	v_add_f64 v[110:111], v[110:111], -v[0:1]
	buffer_load_dword v0, off, s[64:67], 0 offset:252 ; 4-byte Folded Reload
	buffer_load_dword v1, off, s[64:67], 0 offset:256 ; 4-byte Folded Reload
	v_add_f64 v[110:111], v[24:25], v[110:111]
	s_waitcnt vmcnt(0)
	v_add_f64 v[120:121], v[120:121], -v[0:1]
	buffer_load_dword v0, off, s[64:67], 0 offset:76 ; 4-byte Folded Reload
	buffer_load_dword v1, off, s[64:67], 0 offset:80 ; 4-byte Folded Reload
	v_add_f64 v[110:111], v[120:121], v[110:111]
	v_mul_f64 v[120:121], v[241:242], s[22:23]
	s_waitcnt vmcnt(0)
	v_add_f64 v[112:113], v[0:1], v[112:113]
	buffer_load_dword v0, off, s[64:67], 0 offset:348 ; 4-byte Folded Reload
	buffer_load_dword v1, off, s[64:67], 0 offset:352 ; 4-byte Folded Reload
	v_add_f64 v[112:113], v[26:27], v[112:113]
	s_waitcnt vmcnt(0)
	v_add_f64 v[152:153], v[152:153], -v[0:1]
	buffer_load_dword v0, off, s[64:67], 0 offset:244 ; 4-byte Folded Reload
	buffer_load_dword v1, off, s[64:67], 0 offset:248 ; 4-byte Folded Reload
	v_add_f64 v[110:111], v[152:153], v[110:111]
	v_mul_f64 v[152:153], v[132:133], s[10:11]
	v_add_f64 v[110:111], v[160:161], v[110:111]
	v_mul_f64 v[160:161], v[164:165], s[18:19]
	v_add_f64 v[110:111], v[170:171], v[110:111]
	v_add_f64 v[80:81], v[80:81], v[110:111]
	;; [unrolled: 1-line block ×3, first 2 shown]
	s_waitcnt vmcnt(0)
	v_add_f64 v[122:123], v[0:1], v[122:123]
	buffer_load_dword v0, off, s[64:67], 0 offset:332 ; 4-byte Folded Reload
	buffer_load_dword v1, off, s[64:67], 0 offset:336 ; 4-byte Folded Reload
	v_add_f64 v[112:113], v[122:123], v[112:113]
	v_mul_f64 v[122:123], v[241:242], s[16:17]
	s_waitcnt vmcnt(0)
	v_add_f64 v[154:155], v[0:1], v[154:155]
	buffer_load_dword v0, off, s[64:67], 0 offset:444 ; 4-byte Folded Reload
	buffer_load_dword v1, off, s[64:67], 0 offset:448 ; 4-byte Folded Reload
	v_add_f64 v[112:113], v[154:155], v[112:113]
	v_mul_f64 v[154:155], v[132:133], s[6:7]
	v_mul_f64 v[132:133], v[132:133], s[8:9]
	v_add_f64 v[54:55], v[132:133], -v[150:151]
	s_waitcnt vmcnt(0)
	v_add_f64 v[184:185], v[0:1], v[184:185]
	buffer_load_dword v0, off, s[64:67], 0 offset:540 ; 4-byte Folded Reload
	buffer_load_dword v1, off, s[64:67], 0 offset:544 ; 4-byte Folded Reload
	v_add_f64 v[112:113], v[184:185], v[112:113]
	v_mul_f64 v[184:185], v[164:165], s[4:5]
	v_mul_f64 v[164:165], v[164:165], s[10:11]
	v_add_f64 v[44:45], v[184:185], -v[195:196]
	v_add_f64 v[52:53], v[164:165], -v[207:208]
	s_waitcnt vmcnt(0)
	v_add_f64 v[203:204], v[0:1], v[203:204]
	buffer_load_dword v0, off, s[64:67], 0 offset:44 ; 4-byte Folded Reload
	buffer_load_dword v1, off, s[64:67], 0 offset:48 ; 4-byte Folded Reload
	v_add_f64 v[84:85], v[203:204], v[112:113]
	v_add_f64 v[112:113], v[162:163], v[138:139]
	;; [unrolled: 1-line block ×6, first 2 shown]
	s_waitcnt vmcnt(0)
	v_add_f64 v[124:125], v[0:1], v[168:169]
	buffer_load_dword v0, off, s[64:67], 0 offset:28 ; 4-byte Folded Reload
	buffer_load_dword v1, off, s[64:67], 0 offset:32 ; 4-byte Folded Reload
	v_add_f64 v[26:27], v[26:27], v[124:125]
	s_waitcnt vmcnt(0)
	v_add_f64 v[32:33], v[136:137], -v[0:1]
	buffer_load_dword v0, off, s[64:67], 0 offset:60 ; 4-byte Folded Reload
	buffer_load_dword v1, off, s[64:67], 0 offset:64 ; 4-byte Folded Reload
	v_add_f64 v[32:33], v[24:25], v[32:33]
	s_waitcnt vmcnt(0)
	v_add_f64 v[34:35], v[114:115], -v[0:1]
	;; [unrolled: 5-line block ×3, first 2 shown]
	buffer_load_dword v0, off, s[64:67], 0 offset:188 ; 4-byte Folded Reload
	buffer_load_dword v1, off, s[64:67], 0 offset:192 ; 4-byte Folded Reload
	v_add_f64 v[24:25], v[114:115], v[24:25]
	s_waitcnt vmcnt(0)
	v_add_f64 v[116:117], v[0:1], v[172:173]
	buffer_load_dword v0, off, s[64:67], 0 offset:172 ; 4-byte Folded Reload
	buffer_load_dword v1, off, s[64:67], 0 offset:176 ; 4-byte Folded Reload
	v_add_f64 v[26:27], v[116:117], v[26:27]
	s_waitcnt vmcnt(0)
	v_add_f64 v[124:125], v[156:157], -v[0:1]
	buffer_load_dword v0, off, s[64:67], 0 offset:300 ; 4-byte Folded Reload
	buffer_load_dword v1, off, s[64:67], 0 offset:304 ; 4-byte Folded Reload
	v_add_f64 v[32:33], v[124:125], v[32:33]
	s_waitcnt vmcnt(0)
	v_add_f64 v[34:35], v[187:188], -v[0:1]
	buffer_load_dword v0, off, s[64:67], 0 offset:284 ; 4-byte Folded Reload
	buffer_load_dword v1, off, s[64:67], 0 offset:288 ; 4-byte Folded Reload
	v_add_f64 v[24:25], v[34:35], v[24:25]
	s_waitcnt vmcnt(0)
	v_add_f64 v[36:37], v[0:1], v[180:181]
	buffer_load_dword v0, off, s[64:67], 0 offset:276 ; 4-byte Folded Reload
	buffer_load_dword v1, off, s[64:67], 0 offset:280 ; 4-byte Folded Reload
	v_add_f64 v[26:27], v[36:37], v[26:27]
	s_waitcnt vmcnt(0)
	v_add_f64 v[38:39], v[174:175], -v[0:1]
	buffer_load_dword v0, off, s[64:67], 0 offset:404 ; 4-byte Folded Reload
	buffer_load_dword v1, off, s[64:67], 0 offset:408 ; 4-byte Folded Reload
	v_add_f64 v[32:33], v[38:39], v[32:33]
	s_waitcnt vmcnt(0)
	v_add_f64 v[40:41], v[182:183], -v[0:1]
	buffer_load_dword v0, off, s[64:67], 0 offset:388 ; 4-byte Folded Reload
	buffer_load_dword v1, off, s[64:67], 0 offset:392 ; 4-byte Folded Reload
	v_add_f64 v[24:25], v[40:41], v[24:25]
	v_add_f64 v[40:41], v[104:105], v[205:206]
	s_waitcnt vmcnt(0)
	v_add_f64 v[42:43], v[0:1], v[191:192]
	buffer_load_dword v0, off, s[64:67], 0 offset:380 ; 4-byte Folded Reload
	buffer_load_dword v1, off, s[64:67], 0 offset:384 ; 4-byte Folded Reload
	v_add_f64 v[26:27], v[42:43], v[26:27]
	s_waitcnt vmcnt(0)
	v_add_f64 v[36:37], v[189:190], -v[0:1]
	buffer_load_dword v0, off, s[64:67], 0 offset:508 ; 4-byte Folded Reload
	buffer_load_dword v1, off, s[64:67], 0 offset:512 ; 4-byte Folded Reload
	v_add_f64 v[32:33], v[36:37], v[32:33]
	v_add_f64 v[36:37], v[122:123], -v[106:107]
	s_waitcnt vmcnt(0)
	v_add_f64 v[34:35], v[199:200], -v[0:1]
	buffer_load_dword v0, off, s[64:67], 0 offset:492 ; 4-byte Folded Reload
	buffer_load_dword v1, off, s[64:67], 0 offset:496 ; 4-byte Folded Reload
	v_add_f64 v[24:25], v[34:35], v[24:25]
	v_add_f64 v[34:35], v[154:155], -v[144:145]
	v_add_f64 v[24:25], v[36:37], v[24:25]
	v_add_f64 v[36:37], v[178:179], v[217:218]
	;; [unrolled: 1-line block ×3, first 2 shown]
	s_waitcnt vmcnt(0)
	v_add_f64 v[38:39], v[0:1], v[197:198]
	buffer_load_dword v0, off, s[64:67], 0 offset:484 ; 4-byte Folded Reload
	buffer_load_dword v1, off, s[64:67], 0 offset:488 ; 4-byte Folded Reload
	v_add_f64 v[26:27], v[38:39], v[26:27]
	v_add_f64 v[38:39], v[120:121], -v[251:252]
	v_add_f64 v[26:27], v[40:41], v[26:27]
	v_add_f64 v[40:41], v[152:153], -v[140:141]
	s_waitcnt vmcnt(0)
	v_add_f64 v[42:43], v[193:194], -v[0:1]
	v_lshlrev_b32_e32 v0, 4, v15
	v_add_f64 v[32:33], v[42:43], v[32:33]
	v_add_f64 v[42:43], v[142:143], v[215:216]
	;; [unrolled: 1-line block ×4, first 2 shown]
	v_add_f64 v[42:43], v[160:161], -v[176:177]
	v_add_f64 v[26:27], v[76:77], v[112:113]
	v_add_f64 v[76:77], v[88:89], v[90:91]
	;; [unrolled: 1-line block ×11, first 2 shown]
	ds_write_b128 v0, v[36:39]
	ds_write_b128 v0, v[32:35] offset:16
	ds_write_b128 v0, v[28:31] offset:32
	;; [unrolled: 1-line block ×12, first 2 shown]
	buffer_load_dword v24, off, s[64:67], 0 offset:4 ; 4-byte Folded Reload
	buffer_load_dword v25, off, s[64:67], 0 offset:8 ; 4-byte Folded Reload
	;; [unrolled: 1-line block ×4, first 2 shown]
	s_waitcnt vmcnt(0)
	ds_write_b128 v0, v[24:27] offset:208
	ds_write_b128 v0, v[11:14] offset:224
	ds_write_b128 v0, v[7:10] offset:240
	ds_write_b128 v0, v[3:6] offset:256
.LBB0_7:
	s_or_b64 exec, exec, s[24:25]
	buffer_load_dword v2, off, s[64:67], 0  ; 4-byte Folded Reload
	s_load_dwordx4 s[4:7], s[0:1], 0x0
	s_movk_i32 s0, 0xf1
	v_mov_b32_e32 v25, s3
	v_mov_b32_e32 v24, s2
	s_waitcnt vmcnt(0) lgkmcnt(0)
	s_barrier
	s_mov_b32 s9, 0x3fe6a09e
	s_movk_i32 s10, 0x88
	v_mul_lo_u16_sdwa v0, v2, s0 dst_sel:DWORD dst_unused:UNUSED_PAD src0_sel:BYTE_0 src1_sel:DWORD
	v_lshrrev_b16_e32 v0, 12, v0
	v_mul_lo_u16_e32 v1, 17, v0
	v_sub_u16_e32 v1, v2, v1
	v_and_b32_e32 v1, 0xff, v1
	s_movk_i32 s0, 0x70
	v_mad_u64_u32 v[40:41], s[0:1], v1, s0, v[24:25]
	s_mov_b32 s0, 0x667f3bcd
	global_load_dwordx4 v[32:35], v[40:41], off
	global_load_dwordx4 v[28:31], v[40:41], off offset:16
	global_load_dwordx4 v[24:27], v[40:41], off offset:32
	;; [unrolled: 1-line block ×6, first 2 shown]
	ds_read_b128 v[40:43], v255
	ds_read_b128 v[44:47], v255 offset:2992
	ds_read_b128 v[60:63], v255 offset:5984
	;; [unrolled: 1-line block ×7, first 2 shown]
	s_waitcnt vmcnt(0) lgkmcnt(0)
	s_barrier
	s_mov_b32 s1, 0xbfe6a09e
	s_mov_b32 s8, s0
	v_mul_u32_u24_e32 v0, 0x88, v0
	v_add_lshl_u32 v172, v0, v1, 4
	v_mul_f64 v[84:85], v[46:47], v[34:35]
	v_mul_f64 v[88:89], v[62:63], v[30:31]
	;; [unrolled: 1-line block ×8, first 2 shown]
	v_fma_f64 v[44:45], v[44:45], v[32:33], -v[84:85]
	buffer_store_dword v32, off, s[64:67], 0 offset:44 ; 4-byte Folded Spill
	s_nop 0
	buffer_store_dword v33, off, s[64:67], 0 offset:48 ; 4-byte Folded Spill
	buffer_store_dword v34, off, s[64:67], 0 offset:52 ; 4-byte Folded Spill
	;; [unrolled: 1-line block ×3, first 2 shown]
	v_fma_f64 v[60:61], v[60:61], v[28:29], -v[88:89]
	buffer_store_dword v28, off, s[64:67], 0 offset:28 ; 4-byte Folded Spill
	s_nop 0
	buffer_store_dword v29, off, s[64:67], 0 offset:32 ; 4-byte Folded Spill
	buffer_store_dword v30, off, s[64:67], 0 offset:36 ; 4-byte Folded Spill
	;; [unrolled: 1-line block ×3, first 2 shown]
	v_mul_f64 v[112:113], v[74:75], v[54:55]
	v_mul_f64 v[114:115], v[72:73], v[54:55]
	v_mul_f64 v[116:117], v[78:79], v[58:59]
	v_mul_f64 v[118:119], v[76:77], v[58:59]
	v_mul_f64 v[120:121], v[82:83], v[50:51]
	v_mul_f64 v[122:123], v[80:81], v[50:51]
	v_fma_f64 v[64:65], v[64:65], v[24:25], -v[104:105]
	v_fma_f64 v[66:67], v[66:67], v[24:25], v[106:107]
	v_fma_f64 v[68:69], v[68:69], v[251:252], -v[108:109]
	v_fma_f64 v[70:71], v[70:71], v[251:252], v[110:111]
	;; [unrolled: 2-line block ×5, first 2 shown]
	v_add_f64 v[68:69], v[40:41], -v[68:69]
	v_add_f64 v[70:71], v[42:43], -v[70:71]
	;; [unrolled: 1-line block ×6, first 2 shown]
	v_fma_f64 v[40:41], v[40:41], 2.0, -v[68:69]
	v_fma_f64 v[42:43], v[42:43], 2.0, -v[70:71]
	;; [unrolled: 1-line block ×3, first 2 shown]
	v_add_f64 v[76:77], v[70:71], v[76:77]
	v_fma_f64 v[44:45], v[44:45], 2.0, -v[72:73]
	v_fma_f64 v[64:65], v[64:65], 2.0, -v[80:81]
	;; [unrolled: 1-line block ×3, first 2 shown]
	v_add_f64 v[82:83], v[72:73], -v[82:83]
	v_add_f64 v[60:61], v[40:41], -v[60:61]
	v_fma_f64 v[70:71], v[70:71], 2.0, -v[76:77]
	v_add_f64 v[64:65], v[44:45], -v[64:65]
	v_fma_f64 v[72:73], v[72:73], 2.0, -v[82:83]
	v_fma_f64 v[40:41], v[40:41], 2.0, -v[60:61]
	;; [unrolled: 1-line block ×3, first 2 shown]
	v_add_f64 v[120:121], v[40:41], -v[44:45]
	v_fma_f64 v[104:105], v[40:41], 2.0, -v[120:121]
	v_fma_f64 v[46:47], v[46:47], v[32:33], v[86:87]
	v_fma_f64 v[62:63], v[62:63], v[28:29], v[90:91]
	v_add_f64 v[74:75], v[46:47], -v[74:75]
	v_add_f64 v[78:79], v[62:63], -v[78:79]
	v_fma_f64 v[46:47], v[46:47], 2.0, -v[74:75]
	v_add_f64 v[80:81], v[74:75], v[80:81]
	v_fma_f64 v[62:63], v[62:63], 2.0, -v[78:79]
	v_add_f64 v[78:79], v[68:69], -v[78:79]
	v_add_f64 v[66:67], v[46:47], -v[66:67]
	v_fma_f64 v[74:75], v[74:75], 2.0, -v[80:81]
	v_add_f64 v[62:63], v[42:43], -v[62:63]
	v_fma_f64 v[68:69], v[68:69], 2.0, -v[78:79]
	v_fma_f64 v[84:85], v[82:83], s[8:9], v[78:79]
	v_fma_f64 v[86:87], v[80:81], s[8:9], v[76:77]
	v_fma_f64 v[46:47], v[46:47], 2.0, -v[66:67]
	v_fma_f64 v[90:91], v[74:75], s[0:1], v[70:71]
	v_fma_f64 v[42:43], v[42:43], 2.0, -v[62:63]
	v_fma_f64 v[88:89], v[72:73], s[0:1], v[68:69]
	v_add_f64 v[128:129], v[60:61], -v[66:67]
	v_add_f64 v[130:131], v[62:63], v[64:65]
	v_fma_f64 v[132:133], v[80:81], s[0:1], v[84:85]
	v_fma_f64 v[134:135], v[82:83], s[8:9], v[86:87]
	;; [unrolled: 1-line block ×3, first 2 shown]
	v_add_f64 v[122:123], v[42:43], -v[46:47]
	v_fma_f64 v[124:125], v[74:75], s[0:1], v[88:89]
	v_fma_f64 v[112:113], v[60:61], 2.0, -v[128:129]
	v_fma_f64 v[114:115], v[62:63], 2.0, -v[130:131]
	;; [unrolled: 1-line block ×4, first 2 shown]
	v_cmp_gt_u16_e64 s[0:1], s10, v2
	v_fma_f64 v[110:111], v[70:71], 2.0, -v[126:127]
	v_fma_f64 v[106:107], v[42:43], 2.0, -v[122:123]
	;; [unrolled: 1-line block ×3, first 2 shown]
	ds_write_b128 v172, v[128:131] offset:1632
	ds_write_b128 v172, v[132:135] offset:1904
	;; [unrolled: 1-line block ×6, first 2 shown]
	ds_write_b128 v172, v[104:107]
	ds_write_b128 v172, v[108:111] offset:272
	s_waitcnt vmcnt(0) lgkmcnt(0)
	s_barrier
	s_and_saveexec_b64 s[8:9], s[0:1]
	s_cbranch_execz .LBB0_9
; %bb.8:
	ds_read_b128 v[104:107], v255
	ds_read_b128 v[108:111], v255 offset:2176
	ds_read_b128 v[112:115], v255 offset:4352
	;; [unrolled: 1-line block ×10, first 2 shown]
.LBB0_9:
	s_or_b64 exec, exec, s[8:9]
	buffer_load_dword v1, off, s[64:67], 0  ; 4-byte Folded Reload
	v_mov_b32_e32 v2, s3
	s_mov_b32 s24, 0xf8bb580b
	s_mov_b32 s25, 0xbfe14ced
	;; [unrolled: 1-line block ×24, first 2 shown]
	s_waitcnt vmcnt(0)
	v_add_u32_e32 v0, 0xffffff78, v1
	v_cndmask_b32_e64 v0, v0, v1, s[0:1]
	v_mul_hi_i32_i24_e32 v1, 0xa0, v0
	v_mul_i32_i24_e32 v0, 0xa0, v0
	v_add_co_u32_e64 v72, s[2:3], s2, v0
	v_addc_co_u32_e64 v73, s[2:3], v2, v1, s[2:3]
	global_load_dwordx4 v[78:81], v[72:73], off offset:1904
	global_load_dwordx4 v[74:77], v[72:73], off offset:1920
	global_load_dwordx4 v[62:65], v[72:73], off offset:1936
	global_load_dwordx4 v[66:69], v[72:73], off offset:1952
	global_load_dwordx4 v[36:39], v[72:73], off offset:1968
	global_load_dwordx4 v[32:35], v[72:73], off offset:1984
	global_load_dwordx4 v[28:31], v[72:73], off offset:2000
	global_load_dwordx4 v[88:91], v[72:73], off offset:2016
	global_load_dwordx4 v[84:87], v[72:73], off offset:2032
	s_nop 0
	global_load_dwordx4 v[70:73], v[72:73], off offset:2048
	s_mov_b32 s2, 0xd9c712b6
	s_mov_b32 s3, 0x3fda9628
	s_waitcnt vmcnt(9) lgkmcnt(9)
	v_mul_f64 v[136:137], v[110:111], v[80:81]
	v_mul_f64 v[138:139], v[108:109], v[80:81]
	s_waitcnt vmcnt(8) lgkmcnt(8)
	v_mul_f64 v[140:141], v[114:115], v[76:77]
	v_mul_f64 v[142:143], v[112:113], v[76:77]
	;; [unrolled: 3-line block ×6, first 2 shown]
	v_fma_f64 v[124:125], v[124:125], v[36:37], -v[152:153]
	buffer_store_dword v36, off, s[64:67], 0 offset:92 ; 4-byte Folded Spill
	s_nop 0
	buffer_store_dword v37, off, s[64:67], 0 offset:96 ; 4-byte Folded Spill
	buffer_store_dword v38, off, s[64:67], 0 offset:100 ; 4-byte Folded Spill
	buffer_store_dword v39, off, s[64:67], 0 offset:104 ; 4-byte Folded Spill
	v_fma_f64 v[128:129], v[128:129], v[32:33], -v[156:157]
	buffer_store_dword v32, off, s[64:67], 0 offset:76 ; 4-byte Folded Spill
	s_nop 0
	buffer_store_dword v33, off, s[64:67], 0 offset:80 ; 4-byte Folded Spill
	buffer_store_dword v34, off, s[64:67], 0 offset:84 ; 4-byte Folded Spill
	buffer_store_dword v35, off, s[64:67], 0 offset:88 ; 4-byte Folded Spill
	;; [unrolled: 6-line block ×3, first 2 shown]
	v_fma_f64 v[108:109], v[108:109], v[78:79], -v[136:137]
	v_fma_f64 v[110:111], v[110:111], v[78:79], v[138:139]
	v_mul_f64 v[144:145], v[118:119], v[64:65]
	v_mul_f64 v[146:147], v[116:117], v[64:65]
	;; [unrolled: 1-line block ×4, first 2 shown]
	v_fma_f64 v[112:113], v[112:113], v[74:75], -v[140:141]
	v_fma_f64 v[114:115], v[114:115], v[74:75], v[142:143]
	v_fma_f64 v[100:101], v[100:101], v[84:85], -v[168:169]
	v_fma_f64 v[102:103], v[102:103], v[84:85], v[170:171]
	v_add_f64 v[136:137], v[104:105], v[108:109]
	v_add_f64 v[138:139], v[106:107], v[110:111]
	v_fma_f64 v[116:117], v[116:117], v[62:63], -v[144:145]
	v_fma_f64 v[118:119], v[118:119], v[62:63], v[146:147]
	v_fma_f64 v[120:121], v[120:121], v[66:67], -v[148:149]
	v_fma_f64 v[122:123], v[122:123], v[66:67], v[150:151]
	v_add_f64 v[144:145], v[112:113], v[100:101]
	v_add_f64 v[146:147], v[114:115], v[102:103]
	v_add_f64 v[148:149], v[112:113], -v[100:101]
	v_add_f64 v[150:151], v[114:115], -v[102:103]
	v_add_f64 v[112:113], v[136:137], v[112:113]
	v_add_f64 v[114:115], v[138:139], v[114:115]
	s_waitcnt vmcnt(12) lgkmcnt(0)
	v_mul_f64 v[173:174], v[94:95], v[72:73]
	v_mul_f64 v[175:176], v[92:93], v[72:73]
	;; [unrolled: 1-line block ×6, first 2 shown]
	v_add_f64 v[112:113], v[112:113], v[116:117]
	v_add_f64 v[114:115], v[114:115], v[118:119]
	v_fma_f64 v[92:93], v[92:93], v[70:71], -v[173:174]
	v_fma_f64 v[94:95], v[94:95], v[70:71], v[175:176]
	v_fma_f64 v[96:97], v[96:97], v[88:89], -v[164:165]
	v_fma_f64 v[98:99], v[98:99], v[88:89], v[166:167]
	v_mul_f64 v[166:167], v[148:149], s[8:9]
	v_mul_f64 v[164:165], v[150:151], s[8:9]
	v_add_f64 v[112:113], v[112:113], v[120:121]
	v_add_f64 v[114:115], v[114:115], v[122:123]
	;; [unrolled: 1-line block ×3, first 2 shown]
	v_add_f64 v[108:109], v[108:109], -v[92:93]
	v_add_f64 v[142:143], v[110:111], v[94:95]
	v_add_f64 v[110:111], v[110:111], -v[94:95]
	v_fma_f64 v[193:194], v[144:145], s[20:21], -v[168:169]
	v_fma_f64 v[195:196], v[146:147], s[20:21], v[170:171]
	v_add_f64 v[112:113], v[112:113], v[124:125]
	v_mul_f64 v[138:139], v[108:109], s[24:25]
	v_mul_f64 v[136:137], v[110:111], s[24:25]
	;; [unrolled: 1-line block ×4, first 2 shown]
	v_add_f64 v[112:113], v[112:113], v[128:129]
	v_mul_f64 v[160:161], v[110:111], s[22:23]
	v_mul_f64 v[110:111], v[110:111], s[28:29]
	v_fma_f64 v[175:176], v[142:143], s[16:17], v[138:139]
	v_fma_f64 v[138:139], v[142:143], s[16:17], -v[138:139]
	v_fma_f64 v[173:174], v[140:141], s[16:17], -v[136:137]
	v_fma_f64 v[136:137], v[140:141], s[16:17], v[136:137]
	v_fma_f64 v[177:178], v[140:141], s[2:3], -v[152:153]
	v_add_f64 v[112:113], v[112:113], v[132:133]
	v_fma_f64 v[152:153], v[140:141], s[2:3], v[152:153]
	v_fma_f64 v[181:182], v[140:141], s[10:11], -v[156:157]
	v_fma_f64 v[156:157], v[140:141], s[10:11], v[156:157]
	v_add_f64 v[138:139], v[106:107], v[138:139]
	v_fma_f64 v[185:186], v[140:141], s[20:21], -v[160:161]
	v_fma_f64 v[160:161], v[140:141], s[20:21], v[160:161]
	v_fma_f64 v[189:190], v[140:141], s[26:27], -v[110:111]
	v_add_f64 v[112:113], v[112:113], v[96:97]
	v_fma_f64 v[110:111], v[140:141], s[26:27], v[110:111]
	v_fma_f64 v[140:141], v[144:145], s[2:3], -v[164:165]
	v_fma_f64 v[164:165], v[144:145], s[2:3], v[164:165]
	v_fma_f64 v[126:127], v[126:127], v[36:37], v[154:155]
	v_mul_f64 v[154:155], v[108:109], s[8:9]
	v_fma_f64 v[130:131], v[130:131], v[32:33], v[158:159]
	v_mul_f64 v[158:159], v[108:109], s[18:19]
	;; [unrolled: 2-line block ×3, first 2 shown]
	v_mul_f64 v[108:109], v[108:109], s[28:29]
	v_add_f64 v[100:101], v[112:113], v[100:101]
	v_add_f64 v[114:115], v[114:115], v[126:127]
	v_fma_f64 v[179:180], v[142:143], s[2:3], v[154:155]
	v_fma_f64 v[154:155], v[142:143], s[2:3], -v[154:155]
	v_fma_f64 v[183:184], v[142:143], s[10:11], v[158:159]
	v_fma_f64 v[158:159], v[142:143], s[10:11], -v[158:159]
	;; [unrolled: 2-line block ×3, first 2 shown]
	v_fma_f64 v[191:192], v[142:143], s[26:27], v[108:109]
	v_add_f64 v[114:115], v[114:115], v[130:131]
	v_fma_f64 v[108:109], v[142:143], s[26:27], -v[108:109]
	v_fma_f64 v[142:143], v[146:147], s[2:3], v[166:167]
	v_fma_f64 v[166:167], v[146:147], s[2:3], -v[166:167]
	v_add_f64 v[173:174], v[104:105], v[173:174]
	v_add_f64 v[175:176], v[106:107], v[175:176]
	;; [unrolled: 1-line block ×5, first 2 shown]
	v_mul_f64 v[100:101], v[150:151], s[34:35]
	v_add_f64 v[177:178], v[104:105], v[177:178]
	v_add_f64 v[179:180], v[106:107], v[179:180]
	;; [unrolled: 1-line block ×16, first 2 shown]
	v_mul_f64 v[138:139], v[150:151], s[36:37]
	v_add_f64 v[191:192], v[106:107], v[191:192]
	v_add_f64 v[104:105], v[104:105], v[110:111]
	;; [unrolled: 1-line block ×6, first 2 shown]
	v_mul_f64 v[102:103], v[148:149], s[34:35]
	v_add_f64 v[112:113], v[164:165], v[136:137]
	v_fma_f64 v[142:143], v[144:145], s[20:21], v[168:169]
	v_fma_f64 v[164:165], v[146:147], s[20:21], -v[170:171]
	v_fma_f64 v[166:167], v[144:145], s[26:27], -v[100:101]
	v_fma_f64 v[100:101], v[144:145], s[26:27], v[100:101]
	v_fma_f64 v[170:171], v[144:145], s[10:11], -v[138:139]
	v_mul_f64 v[173:174], v[148:149], s[36:37]
	v_fma_f64 v[168:169], v[146:147], s[26:27], v[102:103]
	v_fma_f64 v[102:103], v[146:147], s[26:27], -v[102:103]
	v_fma_f64 v[138:139], v[144:145], s[10:11], v[138:139]
	v_mul_f64 v[150:151], v[150:151], s[30:31]
	v_mul_f64 v[148:149], v[148:149], s[30:31]
	v_add_f64 v[142:143], v[142:143], v[152:153]
	v_add_f64 v[152:153], v[164:165], v[154:155]
	;; [unrolled: 1-line block ×7, first 2 shown]
	v_fma_f64 v[158:159], v[146:147], s[10:11], v[173:174]
	v_add_f64 v[166:167], v[118:119], -v[98:99]
	v_fma_f64 v[168:169], v[146:147], s[10:11], -v[173:174]
	v_add_f64 v[170:171], v[116:117], -v[96:97]
	v_add_f64 v[138:139], v[138:139], v[160:161]
	v_fma_f64 v[160:161], v[144:145], s[16:17], -v[150:151]
	v_fma_f64 v[173:174], v[146:147], s[16:17], v[148:149]
	v_add_f64 v[96:97], v[116:117], v[96:97]
	v_add_f64 v[98:99], v[118:119], v[98:99]
	v_mul_f64 v[116:117], v[166:167], s[18:19]
	v_fma_f64 v[144:145], v[144:145], s[16:17], v[150:151]
	v_mul_f64 v[118:119], v[170:171], s[18:19]
	v_fma_f64 v[146:147], v[146:147], s[16:17], -v[148:149]
	v_add_f64 v[150:151], v[160:161], v[189:190]
	v_add_f64 v[160:161], v[173:174], v[191:192]
	v_mul_f64 v[173:174], v[170:171], s[34:35]
	v_add_f64 v[140:141], v[195:196], v[179:180]
	v_add_f64 v[162:163], v[168:169], v[162:163]
	v_fma_f64 v[148:149], v[96:97], s[10:11], -v[116:117]
	v_mul_f64 v[168:169], v[166:167], s[34:35]
	v_fma_f64 v[175:176], v[98:99], s[10:11], v[118:119]
	v_add_f64 v[106:107], v[146:147], v[106:107]
	v_fma_f64 v[118:119], v[98:99], s[10:11], -v[118:119]
	v_fma_f64 v[146:147], v[98:99], s[26:27], v[173:174]
	s_mov_b32 s9, 0x3fed1bb4
	v_add_f64 v[136:137], v[193:194], v[177:178]
	v_add_f64 v[104:105], v[144:145], v[104:105]
	;; [unrolled: 1-line block ×3, first 2 shown]
	v_fma_f64 v[116:117], v[96:97], s[10:11], v[116:117]
	v_fma_f64 v[144:145], v[96:97], s[26:27], -v[168:169]
	v_add_f64 v[110:111], v[175:176], v[110:111]
	v_mul_f64 v[148:149], v[166:167], s[8:9]
	v_mul_f64 v[175:176], v[170:171], s[8:9]
	v_add_f64 v[114:115], v[118:119], v[114:115]
	v_add_f64 v[118:119], v[146:147], v[140:141]
	v_fma_f64 v[140:141], v[98:99], s[26:27], -v[173:174]
	v_mul_f64 v[173:174], v[170:171], s[24:25]
	v_add_f64 v[158:159], v[158:159], v[187:188]
	v_add_f64 v[112:113], v[116:117], v[112:113]
	;; [unrolled: 1-line block ×3, first 2 shown]
	v_fma_f64 v[136:137], v[96:97], s[26:27], v[168:169]
	v_fma_f64 v[144:145], v[96:97], s[2:3], -v[148:149]
	v_fma_f64 v[146:147], v[98:99], s[2:3], v[175:176]
	v_mul_f64 v[168:169], v[166:167], s[24:25]
	v_add_f64 v[140:141], v[140:141], v[152:153]
	v_fma_f64 v[152:153], v[98:99], s[16:17], v[173:174]
	v_fma_f64 v[148:149], v[96:97], s[2:3], v[148:149]
	v_fma_f64 v[175:176], v[98:99], s[2:3], -v[175:176]
	v_add_f64 v[136:137], v[136:137], v[142:143]
	v_add_f64 v[142:143], v[144:145], v[154:155]
	;; [unrolled: 1-line block ×3, first 2 shown]
	v_fma_f64 v[146:147], v[96:97], s[16:17], -v[168:169]
	v_mul_f64 v[154:155], v[170:171], s[22:23]
	v_add_f64 v[152:153], v[152:153], v[158:159]
	v_add_f64 v[158:159], v[120:121], -v[132:133]
	v_add_f64 v[100:101], v[148:149], v[100:101]
	v_mul_f64 v[148:149], v[166:167], s[22:23]
	v_fma_f64 v[166:167], v[98:99], s[16:17], -v[173:174]
	v_fma_f64 v[164:165], v[96:97], s[16:17], v[168:169]
	v_add_f64 v[146:147], v[146:147], v[156:157]
	v_add_f64 v[156:157], v[122:123], -v[134:135]
	v_fma_f64 v[170:171], v[98:99], s[20:21], v[154:155]
	v_add_f64 v[122:123], v[122:123], v[134:135]
	v_fma_f64 v[98:99], v[98:99], s[20:21], -v[154:155]
	v_mul_f64 v[154:155], v[158:159], s[36:37]
	v_add_f64 v[120:121], v[120:121], v[132:133]
	v_mul_f64 v[134:135], v[158:159], s[22:23]
	v_fma_f64 v[168:169], v[96:97], s[20:21], -v[148:149]
	v_mul_f64 v[132:133], v[156:157], s[22:23]
	v_add_f64 v[138:139], v[164:165], v[138:139]
	v_add_f64 v[162:163], v[166:167], v[162:163]
	;; [unrolled: 1-line block ×3, first 2 shown]
	v_fma_f64 v[106:107], v[122:123], s[10:11], v[154:155]
	v_fma_f64 v[96:97], v[96:97], s[20:21], v[148:149]
	v_mul_f64 v[148:149], v[156:157], s[36:37]
	v_fma_f64 v[166:167], v[122:123], s[20:21], v[134:135]
	v_fma_f64 v[164:165], v[120:121], s[20:21], -v[132:133]
	v_fma_f64 v[132:133], v[120:121], s[20:21], v[132:133]
	v_fma_f64 v[134:135], v[122:123], s[20:21], -v[134:135]
	v_add_f64 v[160:161], v[170:171], v[160:161]
	v_add_f64 v[106:107], v[106:107], v[118:119]
	v_mul_f64 v[118:119], v[158:159], s[28:29]
	v_add_f64 v[96:97], v[96:97], v[104:105]
	v_fma_f64 v[104:105], v[120:121], s[10:11], -v[148:149]
	v_fma_f64 v[148:149], v[120:121], s[10:11], v[148:149]
	v_add_f64 v[112:113], v[132:133], v[112:113]
	v_add_f64 v[114:115], v[134:135], v[114:115]
	v_mul_f64 v[132:133], v[156:157], s[24:25]
	v_mul_f64 v[134:135], v[158:159], s[24:25]
	v_fma_f64 v[154:155], v[122:123], s[10:11], -v[154:155]
	v_fma_f64 v[170:171], v[122:123], s[26:27], v[118:119]
	v_add_f64 v[102:103], v[175:176], v[102:103]
	v_add_f64 v[108:109], v[164:165], v[108:109]
	;; [unrolled: 1-line block ×4, first 2 shown]
	v_mul_f64 v[116:117], v[156:157], s[28:29]
	v_fma_f64 v[164:165], v[120:121], s[16:17], -v[132:133]
	v_fma_f64 v[166:167], v[122:123], s[16:17], v[134:135]
	v_fma_f64 v[132:133], v[120:121], s[16:17], v[132:133]
	v_fma_f64 v[134:135], v[122:123], s[16:17], -v[134:135]
	v_add_f64 v[136:137], v[148:149], v[136:137]
	v_add_f64 v[140:141], v[154:155], v[140:141]
	;; [unrolled: 1-line block ×3, first 2 shown]
	v_add_f64 v[152:153], v[126:127], -v[130:131]
	v_add_f64 v[154:155], v[124:125], -v[128:129]
	v_add_f64 v[150:151], v[168:169], v[150:151]
	v_fma_f64 v[168:169], v[120:121], s[26:27], -v[116:117]
	v_add_f64 v[132:133], v[132:133], v[100:101]
	v_add_f64 v[134:135], v[134:135], v[102:103]
	v_mul_f64 v[100:101], v[156:157], s[8:9]
	v_mul_f64 v[102:103], v[158:159], s[8:9]
	v_fma_f64 v[116:117], v[120:121], s[26:27], v[116:117]
	v_fma_f64 v[118:119], v[122:123], s[26:27], -v[118:119]
	v_add_f64 v[124:125], v[124:125], v[128:129]
	v_add_f64 v[126:127], v[126:127], v[130:131]
	v_mul_f64 v[128:129], v[152:153], s[28:29]
	v_mul_f64 v[130:131], v[154:155], s[28:29]
	v_fma_f64 v[156:157], v[120:121], s[2:3], -v[100:101]
	v_fma_f64 v[158:159], v[122:123], s[2:3], v[102:103]
	v_add_f64 v[138:139], v[116:117], v[138:139]
	v_add_f64 v[162:163], v[118:119], v[162:163]
	v_fma_f64 v[100:101], v[120:121], s[2:3], v[100:101]
	v_fma_f64 v[102:103], v[122:123], s[2:3], -v[102:103]
	v_fma_f64 v[116:117], v[124:125], s[26:27], -v[128:129]
	v_fma_f64 v[118:119], v[126:127], s[26:27], v[130:131]
	v_mul_f64 v[120:121], v[152:153], s[30:31]
	v_mul_f64 v[122:123], v[154:155], s[30:31]
	v_add_f64 v[150:151], v[156:157], v[150:151]
	v_add_f64 v[156:157], v[158:159], v[160:161]
	;; [unrolled: 1-line block ×6, first 2 shown]
	v_fma_f64 v[100:101], v[124:125], s[26:27], v[128:129]
	v_fma_f64 v[102:103], v[126:127], s[26:27], -v[130:131]
	v_fma_f64 v[116:117], v[124:125], s[16:17], -v[120:121]
	v_fma_f64 v[118:119], v[126:127], s[16:17], v[122:123]
	v_mul_f64 v[128:129], v[152:153], s[22:23]
	v_mul_f64 v[130:131], v[154:155], s[22:23]
	v_fma_f64 v[120:121], v[124:125], s[16:17], v[120:121]
	v_fma_f64 v[122:123], v[126:127], s[16:17], -v[122:123]
	v_add_f64 v[142:143], v[164:165], v[142:143]
	v_add_f64 v[144:145], v[166:167], v[144:145]
	;; [unrolled: 1-line block ×6, first 2 shown]
	v_fma_f64 v[104:105], v[124:125], s[20:21], -v[128:129]
	v_fma_f64 v[106:107], v[126:127], s[20:21], v[130:131]
	v_add_f64 v[112:113], v[120:121], v[136:137]
	v_add_f64 v[114:115], v[122:123], v[140:141]
	v_fma_f64 v[116:117], v[124:125], s[20:21], v[128:129]
	v_fma_f64 v[118:119], v[126:127], s[20:21], -v[130:131]
	v_mul_f64 v[120:121], v[152:153], s[8:9]
	v_mul_f64 v[122:123], v[154:155], s[8:9]
	;; [unrolled: 1-line block ×4, first 2 shown]
	v_add_f64 v[146:147], v[168:169], v[146:147]
	v_add_f64 v[104:105], v[104:105], v[142:143]
	;; [unrolled: 1-line block ×5, first 2 shown]
	v_fma_f64 v[132:133], v[124:125], s[2:3], -v[120:121]
	v_fma_f64 v[134:135], v[126:127], s[2:3], v[122:123]
	v_fma_f64 v[136:137], v[124:125], s[2:3], v[120:121]
	v_fma_f64 v[140:141], v[126:127], s[2:3], -v[122:123]
	v_fma_f64 v[142:143], v[124:125], s[10:11], -v[128:129]
	v_fma_f64 v[144:145], v[126:127], s[10:11], v[130:131]
	v_fma_f64 v[152:153], v[124:125], s[10:11], v[128:129]
	v_fma_f64 v[154:155], v[126:127], s[10:11], -v[130:131]
	v_add_f64 v[120:121], v[132:133], v[146:147]
	v_add_f64 v[122:123], v[134:135], v[148:149]
	;; [unrolled: 1-line block ×8, first 2 shown]
	s_mov_b64 s[2:3], exec
	buffer_load_dword v40, off, s[64:67], 0 offset:4 ; 4-byte Folded Reload
	buffer_load_dword v41, off, s[64:67], 0 offset:8 ; 4-byte Folded Reload
	;; [unrolled: 1-line block ×4, first 2 shown]
	s_and_b64 s[8:9], s[2:3], s[0:1]
	s_mov_b64 exec, s[8:9]
	s_cbranch_execz .LBB0_11
; %bb.10:
	ds_write_b128 v255, v[92:95]
	ds_write_b128 v255, v[96:99] offset:2176
	ds_write_b128 v255, v[100:103] offset:4352
	;; [unrolled: 1-line block ×10, first 2 shown]
.LBB0_11:
	s_or_b64 exec, exec, s[2:3]
	s_waitcnt vmcnt(0) lgkmcnt(0)
	s_barrier
	s_and_saveexec_b64 s[8:9], vcc
	s_cbranch_execz .LBB0_13
; %bb.12:
	s_add_u32 s10, s12, 0x5d80
	s_addc_u32 s11, s13, 0
	ds_read_b128 v[138:141], v255
	global_load_dwordx4 v[142:145], v255, s[10:11]
	v_add_co_u32_e64 v136, s[2:3], s10, v255
	v_mov_b32_e32 v0, s11
	v_addc_co_u32_e64 v137, s[2:3], 0, v0, s[2:3]
	s_movk_i32 s2, 0x1000
	v_add_co_u32_e64 v150, s[2:3], s2, v136
	v_addc_co_u32_e64 v151, s[2:3], 0, v137, s[2:3]
	s_movk_i32 s2, 0x2000
	v_or_b32_e32 v0, 0x5800, v255
	s_waitcnt vmcnt(0) lgkmcnt(0)
	v_mul_f64 v[146:147], v[140:141], v[144:145]
	v_fma_f64 v[146:147], v[138:139], v[142:143], -v[146:147]
	v_mul_f64 v[138:139], v[138:139], v[144:145]
	v_fma_f64 v[148:149], v[140:141], v[142:143], v[138:139]
	ds_read_b128 v[138:141], v255 offset:1408
	global_load_dwordx4 v[142:145], v255, s[10:11] offset:1408
	ds_write_b128 v255, v[146:149]
	s_waitcnt vmcnt(0) lgkmcnt(1)
	v_mul_f64 v[146:147], v[140:141], v[144:145]
	v_fma_f64 v[146:147], v[138:139], v[142:143], -v[146:147]
	v_mul_f64 v[138:139], v[138:139], v[144:145]
	v_fma_f64 v[148:149], v[140:141], v[142:143], v[138:139]
	ds_read_b128 v[138:141], v255 offset:2816
	global_load_dwordx4 v[142:145], v255, s[10:11] offset:2816
	ds_write_b128 v255, v[146:149] offset:1408
	s_waitcnt vmcnt(0) lgkmcnt(1)
	v_mul_f64 v[146:147], v[140:141], v[144:145]
	v_fma_f64 v[146:147], v[138:139], v[142:143], -v[146:147]
	v_mul_f64 v[138:139], v[138:139], v[144:145]
	v_fma_f64 v[148:149], v[140:141], v[142:143], v[138:139]
	global_load_dwordx4 v[142:145], v[150:151], off offset:128
	ds_read_b128 v[138:141], v255 offset:4224
	ds_write_b128 v255, v[146:149] offset:2816
	s_waitcnt vmcnt(0) lgkmcnt(1)
	v_mul_f64 v[146:147], v[140:141], v[144:145]
	v_fma_f64 v[146:147], v[138:139], v[142:143], -v[146:147]
	v_mul_f64 v[138:139], v[138:139], v[144:145]
	v_fma_f64 v[148:149], v[140:141], v[142:143], v[138:139]
	global_load_dwordx4 v[142:145], v[150:151], off offset:1536
	ds_read_b128 v[138:141], v255 offset:5632
	ds_write_b128 v255, v[146:149] offset:4224
	s_waitcnt vmcnt(0) lgkmcnt(1)
	v_mul_f64 v[146:147], v[140:141], v[144:145]
	v_fma_f64 v[146:147], v[138:139], v[142:143], -v[146:147]
	v_mul_f64 v[138:139], v[138:139], v[144:145]
	v_fma_f64 v[148:149], v[140:141], v[142:143], v[138:139]
	global_load_dwordx4 v[142:145], v[150:151], off offset:2944
	ds_read_b128 v[138:141], v255 offset:7040
	v_add_co_u32_e64 v150, s[2:3], s2, v136
	v_addc_co_u32_e64 v151, s[2:3], 0, v137, s[2:3]
	s_movk_i32 s2, 0x3000
	ds_write_b128 v255, v[146:149] offset:5632
	s_waitcnt vmcnt(0) lgkmcnt(1)
	v_mul_f64 v[146:147], v[140:141], v[144:145]
	v_fma_f64 v[146:147], v[138:139], v[142:143], -v[146:147]
	v_mul_f64 v[138:139], v[138:139], v[144:145]
	v_fma_f64 v[148:149], v[140:141], v[142:143], v[138:139]
	global_load_dwordx4 v[142:145], v[150:151], off offset:256
	ds_read_b128 v[138:141], v255 offset:8448
	ds_write_b128 v255, v[146:149] offset:7040
	s_waitcnt vmcnt(0) lgkmcnt(1)
	v_mul_f64 v[146:147], v[140:141], v[144:145]
	v_fma_f64 v[146:147], v[138:139], v[142:143], -v[146:147]
	v_mul_f64 v[138:139], v[138:139], v[144:145]
	v_fma_f64 v[148:149], v[140:141], v[142:143], v[138:139]
	global_load_dwordx4 v[142:145], v[150:151], off offset:1664
	ds_read_b128 v[138:141], v255 offset:9856
	ds_write_b128 v255, v[146:149] offset:8448
	s_waitcnt vmcnt(0) lgkmcnt(1)
	v_mul_f64 v[146:147], v[140:141], v[144:145]
	v_fma_f64 v[146:147], v[138:139], v[142:143], -v[146:147]
	v_mul_f64 v[138:139], v[138:139], v[144:145]
	v_fma_f64 v[148:149], v[140:141], v[142:143], v[138:139]
	global_load_dwordx4 v[142:145], v[150:151], off offset:3072
	ds_read_b128 v[138:141], v255 offset:11264
	v_add_co_u32_e64 v150, s[2:3], s2, v136
	v_addc_co_u32_e64 v151, s[2:3], 0, v137, s[2:3]
	s_movk_i32 s2, 0x4000
	ds_write_b128 v255, v[146:149] offset:9856
	s_waitcnt vmcnt(0) lgkmcnt(1)
	v_mul_f64 v[146:147], v[140:141], v[144:145]
	v_fma_f64 v[146:147], v[138:139], v[142:143], -v[146:147]
	v_mul_f64 v[138:139], v[138:139], v[144:145]
	v_fma_f64 v[148:149], v[140:141], v[142:143], v[138:139]
	global_load_dwordx4 v[142:145], v[150:151], off offset:384
	ds_read_b128 v[138:141], v255 offset:12672
	ds_write_b128 v255, v[146:149] offset:11264
	s_waitcnt vmcnt(0) lgkmcnt(1)
	v_mul_f64 v[146:147], v[140:141], v[144:145]
	v_fma_f64 v[146:147], v[138:139], v[142:143], -v[146:147]
	v_mul_f64 v[138:139], v[138:139], v[144:145]
	v_fma_f64 v[148:149], v[140:141], v[142:143], v[138:139]
	global_load_dwordx4 v[142:145], v[150:151], off offset:1792
	ds_read_b128 v[138:141], v255 offset:14080
	ds_write_b128 v255, v[146:149] offset:12672
	s_waitcnt vmcnt(0) lgkmcnt(1)
	v_mul_f64 v[146:147], v[140:141], v[144:145]
	v_fma_f64 v[146:147], v[138:139], v[142:143], -v[146:147]
	v_mul_f64 v[138:139], v[138:139], v[144:145]
	v_fma_f64 v[148:149], v[140:141], v[142:143], v[138:139]
	global_load_dwordx4 v[142:145], v[150:151], off offset:3200
	ds_read_b128 v[138:141], v255 offset:15488
	v_add_co_u32_e64 v150, s[2:3], s2, v136
	v_addc_co_u32_e64 v151, s[2:3], 0, v137, s[2:3]
	s_movk_i32 s2, 0x5000
	ds_write_b128 v255, v[146:149] offset:14080
	v_add_co_u32_e64 v136, s[2:3], s2, v136
	v_addc_co_u32_e64 v137, s[2:3], 0, v137, s[2:3]
	s_waitcnt vmcnt(0) lgkmcnt(1)
	v_mul_f64 v[146:147], v[140:141], v[144:145]
	v_fma_f64 v[146:147], v[138:139], v[142:143], -v[146:147]
	v_mul_f64 v[138:139], v[138:139], v[144:145]
	v_fma_f64 v[148:149], v[140:141], v[142:143], v[138:139]
	global_load_dwordx4 v[142:145], v[150:151], off offset:512
	ds_read_b128 v[138:141], v255 offset:16896
	ds_write_b128 v255, v[146:149] offset:15488
	s_waitcnt vmcnt(0) lgkmcnt(1)
	v_mul_f64 v[146:147], v[140:141], v[144:145]
	v_fma_f64 v[146:147], v[138:139], v[142:143], -v[146:147]
	v_mul_f64 v[138:139], v[138:139], v[144:145]
	v_fma_f64 v[148:149], v[140:141], v[142:143], v[138:139]
	global_load_dwordx4 v[142:145], v[150:151], off offset:1920
	ds_read_b128 v[138:141], v255 offset:18304
	ds_write_b128 v255, v[146:149] offset:16896
	;; [unrolled: 8-line block ×4, first 2 shown]
	s_waitcnt vmcnt(0) lgkmcnt(1)
	v_mul_f64 v[136:137], v[140:141], v[144:145]
	v_fma_f64 v[136:137], v[138:139], v[142:143], -v[136:137]
	v_mul_f64 v[138:139], v[138:139], v[144:145]
	v_fma_f64 v[138:139], v[140:141], v[142:143], v[138:139]
	global_load_dwordx4 v[140:143], v0, s[10:11]
	ds_write_b128 v255, v[136:139] offset:21120
	ds_read_b128 v[136:139], v255 offset:22528
	s_waitcnt vmcnt(0) lgkmcnt(0)
	v_mul_f64 v[144:145], v[138:139], v[142:143]
	v_fma_f64 v[144:145], v[136:137], v[140:141], -v[144:145]
	v_mul_f64 v[136:137], v[136:137], v[142:143]
	v_fma_f64 v[146:147], v[138:139], v[140:141], v[136:137]
	ds_write_b128 v255, v[144:147] offset:22528
.LBB0_13:
	s_or_b64 exec, exec, s[8:9]
	s_waitcnt lgkmcnt(0)
	s_barrier
	s_and_saveexec_b64 s[2:3], vcc
	s_cbranch_execz .LBB0_15
; %bb.14:
	ds_read_b128 v[92:95], v255
	ds_read_b128 v[96:99], v255 offset:1408
	ds_read_b128 v[100:103], v255 offset:2816
	;; [unrolled: 1-line block ×16, first 2 shown]
.LBB0_15:
	s_or_b64 exec, exec, s[2:3]
	s_waitcnt lgkmcnt(0)
	v_add_f64 v[177:178], v[98:99], -v[5:6]
	s_mov_b32 s10, 0x4363dd80
	s_mov_b32 s11, 0xbfe0d888
	v_add_f64 v[173:174], v[3:4], v[96:97]
	v_add_f64 v[175:176], v[5:6], v[98:99]
	v_add_f64 v[183:184], v[102:103], -v[9:10]
	s_mov_b32 s2, 0x910ea3b9
	s_mov_b32 s30, 0x7c9e640b
	v_mul_f64 v[148:149], v[177:178], s[10:11]
	s_mov_b32 s3, 0xbfeb34fa
	s_mov_b32 s31, 0x3feca52d
	v_add_f64 v[185:186], v[96:97], -v[3:4]
	v_mul_f64 v[150:151], v[175:176], s[2:3]
	v_add_f64 v[179:180], v[100:101], v[7:8]
	v_add_f64 v[181:182], v[102:103], v[9:10]
	v_mul_f64 v[152:153], v[183:184], s[30:31]
	v_fma_f64 v[136:137], v[173:174], s[2:3], -v[148:149]
	s_mov_b32 s18, 0x2b2883cd
	s_mov_b32 s19, 0x3fdc86fa
	v_add_f64 v[193:194], v[100:101], -v[7:8]
	v_fma_f64 v[138:139], v[185:186], s[10:11], v[150:151]
	s_mov_b32 s16, 0xacd6c6b4
	v_mul_f64 v[154:155], v[181:182], s[18:19]
	v_fma_f64 v[156:157], v[179:180], s[18:19], -v[152:153]
	v_add_f64 v[136:137], v[92:93], v[136:137]
	s_mov_b32 s17, 0xbfc7851a
	v_mul_f64 v[140:141], v[177:178], s[16:17]
	s_mov_b32 s8, 0x7faef3
	v_add_f64 v[138:139], v[94:95], v[138:139]
	s_mov_b32 s36, 0x5d8e7cdc
	s_mov_b32 s9, 0xbfef7484
	;; [unrolled: 1-line block ×3, first 2 shown]
	v_add_f64 v[136:137], v[156:157], v[136:137]
	v_fma_f64 v[156:157], v[193:194], s[30:31], v[154:155]
	v_fma_f64 v[142:143], v[173:174], s[8:9], v[140:141]
	s_mov_b32 s20, 0x370991
	s_mov_b32 s21, 0x3fedd6d0
	v_mul_f64 v[144:145], v[175:176], s[8:9]
	v_fma_f64 v[140:141], v[173:174], s[8:9], -v[140:141]
	s_mov_b32 s41, 0x3fc7851a
	s_mov_b32 s40, s16
	v_add_f64 v[138:139], v[156:157], v[138:139]
	v_mul_f64 v[156:157], v[183:184], s[36:37]
	v_add_f64 v[142:143], v[92:93], v[142:143]
	v_add_f64 v[191:192], v[106:107], -v[13:14]
	v_fma_f64 v[146:147], v[185:186], s[40:41], v[144:145]
	v_add_f64 v[140:141], v[92:93], v[140:141]
	v_fma_f64 v[144:145], v[185:186], s[16:17], v[144:145]
	s_mov_b32 s26, 0xeb564b22
	s_mov_b32 s23, 0xbfd71e95
	v_fma_f64 v[158:159], v[179:180], s[20:21], v[156:157]
	v_fma_f64 v[156:157], v[179:180], s[20:21], -v[156:157]
	s_mov_b32 s22, s36
	s_mov_b32 s27, 0xbfefdd0d
	v_add_f64 v[146:147], v[94:95], v[146:147]
	v_add_f64 v[144:145], v[94:95], v[144:145]
	;; [unrolled: 1-line block ×5, first 2 shown]
	v_mul_f64 v[158:159], v[181:182], s[20:21]
	v_add_f64 v[140:141], v[156:157], v[140:141]
	s_mov_b32 s24, 0x3259b75e
	s_mov_b32 s25, 0x3fb79ee6
	v_add_f64 v[195:196], v[104:105], -v[11:12]
	v_add_f64 v[201:202], v[122:123], -v[42:43]
	s_mov_b32 s56, 0x6c9a05f6
	s_mov_b32 s45, 0x3fe0d888
	v_fma_f64 v[156:157], v[193:194], s[36:37], v[158:159]
	v_fma_f64 v[160:161], v[193:194], s[22:23], v[158:159]
	v_mul_f64 v[158:159], v[189:190], s[24:25]
	s_mov_b32 s44, s10
	s_mov_b32 s57, 0x3fe9895b
	v_add_f64 v[197:198], v[40:41], v[120:121]
	v_add_f64 v[199:200], v[42:43], v[122:123]
	s_mov_b32 s28, 0x6ed5f1bb
	v_add_f64 v[144:145], v[156:157], v[144:145]
	v_mul_f64 v[156:157], v[191:192], s[26:27]
	v_add_f64 v[146:147], v[160:161], v[146:147]
	s_mov_b32 s29, 0xbfe348c8
	v_add_f64 v[205:206], v[120:121], -v[40:41]
	s_mov_b32 s54, 0x2a9d6da3
	s_mov_b32 s55, 0x3fe58eea
	;; [unrolled: 1-line block ×4, first 2 shown]
	v_fma_f64 v[160:161], v[187:188], s[24:25], -v[156:157]
	v_add_f64 v[211:212], v[126:127], -v[18:19]
	s_mov_b32 s39, 0xbfe58eea
	s_mov_b32 s38, s54
	v_add_f64 v[203:204], v[124:125], v[16:17]
	v_add_f64 v[207:208], v[126:127], v[18:19]
	v_add_f64 v[209:210], v[124:125], -v[16:17]
	s_mov_b32 s43, 0xbfe9895b
	v_add_f64 v[136:137], v[160:161], v[136:137]
	v_fma_f64 v[160:161], v[195:196], s[26:27], v[158:159]
	s_mov_b32 s42, s56
	v_add_f64 v[219:220], v[134:135], -v[22:23]
	v_add_f64 v[215:216], v[22:23], v[134:135]
	v_add_f64 v[217:218], v[132:133], -v[20:21]
	v_add_f64 v[227:228], v[130:131], -v[110:111]
	s_mov_b32 s47, 0xbfeca52d
	s_mov_b32 s46, s30
	v_add_f64 v[138:139], v[160:161], v[138:139]
	v_mul_f64 v[160:161], v[191:192], s[10:11]
	s_mov_b32 s50, 0x923c349f
	s_mov_b32 s51, 0xbfeec746
	;; [unrolled: 1-line block ×3, first 2 shown]
	v_mul_f64 v[237:238], v[227:228], s[54:55]
	s_mov_b32 s49, 0xbfd183b1
	v_add_f64 v[235:236], v[118:119], -v[114:115]
	s_mov_b32 s59, 0x3feec746
	v_fma_f64 v[162:163], v[187:188], s[2:3], v[160:161]
	v_fma_f64 v[160:161], v[187:188], s[2:3], -v[160:161]
	s_mov_b32 s58, s50
	s_mov_b32 s61, 0x3fefdd0d
	;; [unrolled: 1-line block ×3, first 2 shown]
	v_mul_f64 v[241:242], v[235:236], s[50:51]
	v_mul_f64 v[247:248], v[235:236], s[60:61]
	v_add_f64 v[142:143], v[162:163], v[142:143]
	v_mul_f64 v[162:163], v[189:190], s[2:3]
	v_add_f64 v[140:141], v[160:161], v[140:141]
	s_barrier
	v_fma_f64 v[160:161], v[195:196], s[10:11], v[162:163]
	v_fma_f64 v[164:165], v[195:196], s[44:45], v[162:163]
	v_mul_f64 v[162:163], v[199:200], s[28:29]
	v_add_f64 v[144:145], v[160:161], v[144:145]
	v_mul_f64 v[160:161], v[201:202], s[56:57]
	v_add_f64 v[146:147], v[164:165], v[146:147]
	v_fma_f64 v[164:165], v[197:198], s[28:29], -v[160:161]
	v_add_f64 v[136:137], v[164:165], v[136:137]
	v_fma_f64 v[164:165], v[205:206], s[56:57], v[162:163]
	v_add_f64 v[138:139], v[164:165], v[138:139]
	v_mul_f64 v[164:165], v[201:202], s[54:55]
	v_fma_f64 v[166:167], v[197:198], s[34:35], v[164:165]
	v_fma_f64 v[164:165], v[197:198], s[34:35], -v[164:165]
	v_add_f64 v[142:143], v[166:167], v[142:143]
	v_mul_f64 v[166:167], v[199:200], s[34:35]
	v_add_f64 v[140:141], v[164:165], v[140:141]
	v_fma_f64 v[164:165], v[205:206], s[54:55], v[166:167]
	v_fma_f64 v[168:169], v[205:206], s[38:39], v[166:167]
	v_mul_f64 v[166:167], v[207:208], s[20:21]
	v_add_f64 v[144:145], v[164:165], v[144:145]
	v_mul_f64 v[164:165], v[211:212], s[22:23]
	v_add_f64 v[146:147], v[168:169], v[146:147]
	v_fma_f64 v[168:169], v[203:204], s[20:21], -v[164:165]
	v_add_f64 v[136:137], v[168:169], v[136:137]
	v_fma_f64 v[168:169], v[209:210], s[22:23], v[166:167]
	v_add_f64 v[138:139], v[168:169], v[138:139]
	v_mul_f64 v[168:169], v[211:212], s[42:43]
	v_fma_f64 v[170:171], v[203:204], s[28:29], v[168:169]
	v_fma_f64 v[168:169], v[203:204], s[28:29], -v[168:169]
	v_add_f64 v[142:143], v[170:171], v[142:143]
	v_mul_f64 v[170:171], v[207:208], s[28:29]
	v_add_f64 v[140:141], v[168:169], v[140:141]
	v_fma_f64 v[213:214], v[209:210], s[56:57], v[170:171]
	v_fma_f64 v[168:169], v[209:210], s[42:43], v[170:171]
	v_mul_f64 v[170:171], v[215:216], s[8:9]
	v_add_f64 v[146:147], v[213:214], v[146:147]
	v_add_f64 v[144:145], v[168:169], v[144:145]
	;; [unrolled: 1-line block ×3, first 2 shown]
	v_mul_f64 v[168:169], v[219:220], s[16:17]
	v_fma_f64 v[221:222], v[213:214], s[8:9], -v[168:169]
	v_add_f64 v[136:137], v[221:222], v[136:137]
	v_fma_f64 v[221:222], v[217:218], s[16:17], v[170:171]
	v_add_f64 v[138:139], v[221:222], v[138:139]
	v_mul_f64 v[221:222], v[219:220], s[30:31]
	v_fma_f64 v[223:224], v[213:214], s[18:19], v[221:222]
	v_fma_f64 v[221:222], v[213:214], s[18:19], -v[221:222]
	v_add_f64 v[142:143], v[223:224], v[142:143]
	v_mul_f64 v[223:224], v[215:216], s[18:19]
	v_add_f64 v[140:141], v[221:222], v[140:141]
	v_fma_f64 v[221:222], v[217:218], s[30:31], v[223:224]
	v_fma_f64 v[225:226], v[217:218], s[46:47], v[223:224]
	v_add_f64 v[223:224], v[130:131], v[110:111]
	v_add_f64 v[144:145], v[221:222], v[144:145]
	;; [unrolled: 1-line block ×4, first 2 shown]
	v_add_f64 v[225:226], v[128:129], -v[108:109]
	v_mul_f64 v[239:240], v[223:224], s[34:35]
	v_fma_f64 v[229:230], v[221:222], s[34:35], -v[237:238]
	v_add_f64 v[136:137], v[229:230], v[136:137]
	v_fma_f64 v[229:230], v[225:226], s[54:55], v[239:240]
	v_add_f64 v[138:139], v[229:230], v[138:139]
	v_mul_f64 v[229:230], v[227:228], s[50:51]
	v_fma_f64 v[231:232], v[221:222], s[48:49], v[229:230]
	v_fma_f64 v[229:230], v[221:222], s[48:49], -v[229:230]
	v_add_f64 v[142:143], v[231:232], v[142:143]
	v_mul_f64 v[231:232], v[223:224], s[48:49]
	v_add_f64 v[140:141], v[229:230], v[140:141]
	v_fma_f64 v[229:230], v[225:226], s[50:51], v[231:232]
	v_fma_f64 v[233:234], v[225:226], s[58:59], v[231:232]
	v_add_f64 v[231:232], v[118:119], v[114:115]
	v_add_f64 v[245:246], v[229:230], v[144:145]
	;; [unrolled: 1-line block ×4, first 2 shown]
	v_add_f64 v[233:234], v[116:117], -v[112:113]
	v_mul_f64 v[243:244], v[231:232], s[48:49]
	v_fma_f64 v[144:145], v[229:230], s[48:49], -v[241:242]
	v_add_f64 v[136:137], v[144:145], v[136:137]
	v_fma_f64 v[144:145], v[233:234], s[50:51], v[243:244]
	v_add_f64 v[138:139], v[144:145], v[138:139]
	v_fma_f64 v[144:145], v[229:230], s[24:25], v[247:248]
	v_fma_f64 v[247:248], v[229:230], s[24:25], -v[247:248]
	v_add_f64 v[144:145], v[144:145], v[142:143]
	v_mul_f64 v[142:143], v[231:232], s[24:25]
	v_add_f64 v[140:141], v[247:248], v[140:141]
	v_fma_f64 v[249:250], v[233:234], s[26:27], v[142:143]
	v_fma_f64 v[142:143], v[233:234], s[60:61], v[142:143]
	v_add_f64 v[146:147], v[249:250], v[146:147]
	v_add_f64 v[142:143], v[142:143], v[245:246]
	s_and_saveexec_b64 s[52:53], vcc
	s_cbranch_execz .LBB0_17
; %bb.16:
	v_mul_f64 v[247:248], v[173:174], s[2:3]
	v_mul_f64 v[245:246], v[185:186], s[10:11]
	;; [unrolled: 1-line block ×3, first 2 shown]
	buffer_store_dword v40, off, s[64:67], 0 offset:4 ; 4-byte Folded Spill
	s_nop 0
	buffer_store_dword v41, off, s[64:67], 0 offset:8 ; 4-byte Folded Spill
	buffer_store_dword v42, off, s[64:67], 0 offset:12 ; 4-byte Folded Spill
	;; [unrolled: 1-line block ×4, first 2 shown]
	s_nop 0
	buffer_store_dword v252, off, s[64:67], 0 offset:144 ; 4-byte Folded Spill
	buffer_store_dword v253, off, s[64:67], 0 offset:148 ; 4-byte Folded Spill
	;; [unrolled: 1-line block ×3, first 2 shown]
	v_mul_f64 v[251:252], v[193:194], s[30:31]
	v_mul_f64 v[253:254], v[187:188], s[24:25]
	buffer_store_dword v3, off, s[64:67], 0 offset:172 ; 4-byte Folded Spill
	s_nop 0
	buffer_store_dword v4, off, s[64:67], 0 offset:176 ; 4-byte Folded Spill
	buffer_store_dword v5, off, s[64:67], 0 offset:180 ; 4-byte Folded Spill
	;; [unrolled: 1-line block ×3, first 2 shown]
	v_mul_f64 v[0:1], v[195:196], s[26:27]
	v_add_f64 v[148:149], v[247:248], v[148:149]
	v_add_f64 v[150:151], v[150:151], -v[245:246]
	v_add_f64 v[152:153], v[249:250], v[152:153]
	v_mul_f64 v[2:3], v[197:198], s[28:29]
	v_add_f64 v[154:155], v[154:155], -v[251:252]
	v_add_f64 v[156:157], v[253:254], v[156:157]
	v_mul_f64 v[245:246], v[205:206], s[56:57]
	v_mul_f64 v[247:248], v[203:204], s[20:21]
	v_add_f64 v[148:149], v[92:93], v[148:149]
	v_add_f64 v[150:151], v[94:95], v[150:151]
	v_add_f64 v[0:1], v[158:159], -v[0:1]
	v_add_f64 v[2:3], v[2:3], v[160:161]
	buffer_store_dword v74, off, s[64:67], 0 offset:108 ; 4-byte Folded Spill
	s_nop 0
	buffer_store_dword v75, off, s[64:67], 0 offset:112 ; 4-byte Folded Spill
	buffer_store_dword v76, off, s[64:67], 0 offset:116 ; 4-byte Folded Spill
	;; [unrolled: 1-line block ×4, first 2 shown]
	s_nop 0
	buffer_store_dword v79, off, s[64:67], 0 offset:128 ; 4-byte Folded Spill
	buffer_store_dword v80, off, s[64:67], 0 offset:132 ; 4-byte Folded Spill
	;; [unrolled: 1-line block ×3, first 2 shown]
	v_mov_b32_e32 v83, v10
	v_mul_f64 v[4:5], v[209:210], s[22:23]
	v_mov_b32_e32 v82, v9
	v_add_f64 v[148:149], v[152:153], v[148:149]
	v_add_f64 v[150:151], v[154:155], v[150:151]
	v_mov_b32_e32 v81, v8
	v_mov_b32_e32 v80, v7
	v_mul_f64 v[6:7], v[213:214], s[8:9]
	v_add_f64 v[162:163], v[162:163], -v[245:246]
	v_add_f64 v[164:165], v[247:248], v[164:165]
	buffer_store_dword v84, off, s[64:67], 0 offset:156 ; 4-byte Folded Spill
	s_nop 0
	buffer_store_dword v85, off, s[64:67], 0 offset:160 ; 4-byte Folded Spill
	buffer_store_dword v86, off, s[64:67], 0 offset:164 ; 4-byte Folded Spill
	;; [unrolled: 1-line block ×3, first 2 shown]
	v_add_f64 v[148:149], v[156:157], v[148:149]
	v_add_f64 v[0:1], v[0:1], v[150:151]
	v_mov_b32_e32 v87, v14
	v_mul_f64 v[249:250], v[217:218], s[16:17]
	v_mul_f64 v[251:252], v[221:222], s[34:35]
	;; [unrolled: 1-line block ×3, first 2 shown]
	v_mov_b32_e32 v86, v13
	v_mov_b32_e32 v85, v12
	v_add_f64 v[2:3], v[2:3], v[148:149]
	v_mov_b32_e32 v84, v11
	v_mul_f64 v[10:11], v[229:230], s[48:49]
	v_add_f64 v[4:5], v[166:167], -v[4:5]
	v_add_f64 v[0:1], v[162:163], v[0:1]
	v_mul_f64 v[148:149], v[185:186], s[42:43]
	v_add_f64 v[6:7], v[6:7], v[168:169]
	v_mul_f64 v[245:246], v[193:194], s[58:59]
	;; [unrolled: 2-line block ×3, first 2 shown]
	v_add_f64 v[170:171], v[170:171], -v[249:250]
	v_mul_f64 v[152:153], v[233:234], s[50:51]
	v_add_f64 v[0:1], v[4:5], v[0:1]
	v_add_f64 v[4:5], v[239:240], -v[8:9]
	v_add_f64 v[8:9], v[10:11], v[241:242]
	v_add_f64 v[10:11], v[251:252], v[237:238]
	v_fma_f64 v[237:238], v[175:176], s[28:29], v[148:149]
	v_add_f64 v[2:3], v[6:7], v[2:3]
	v_mul_f64 v[160:161], v[195:196], s[22:23]
	v_mul_f64 v[162:163], v[183:184], s[58:59]
	v_add_f64 v[0:1], v[170:171], v[0:1]
	v_fma_f64 v[239:240], v[181:182], s[48:49], v[245:246]
	v_fma_f64 v[241:242], v[173:174], s[28:29], -v[166:167]
	v_fma_f64 v[148:149], v[175:176], s[28:29], -v[148:149]
	v_add_f64 v[237:238], v[94:95], v[237:238]
	v_add_f64 v[2:3], v[10:11], v[2:3]
	v_fma_f64 v[10:11], v[173:174], s[28:29], v[166:167]
	v_mul_f64 v[156:157], v[205:206], s[10:11]
	v_add_f64 v[152:153], v[243:244], -v[152:153]
	v_add_f64 v[0:1], v[4:5], v[0:1]
	v_fma_f64 v[4:5], v[189:190], s[20:21], v[160:161]
	v_mul_f64 v[166:167], v[191:192], s[22:23]
	v_fma_f64 v[243:244], v[179:180], s[48:49], -v[162:163]
	v_add_f64 v[241:242], v[92:93], v[241:242]
	v_fma_f64 v[245:246], v[181:182], s[48:49], -v[245:246]
	v_add_f64 v[148:149], v[94:95], v[148:149]
	v_add_f64 v[237:238], v[239:240], v[237:238]
	v_fma_f64 v[162:163], v[179:180], s[48:49], v[162:163]
	v_add_f64 v[10:11], v[92:93], v[10:11]
	v_mul_f64 v[150:151], v[209:210], s[60:61]
	v_fma_f64 v[170:171], v[199:200], s[2:3], v[156:157]
	v_mul_f64 v[239:240], v[201:202], s[10:11]
	v_fma_f64 v[247:248], v[187:188], s[20:21], -v[166:167]
	v_add_f64 v[241:242], v[243:244], v[241:242]
	v_fma_f64 v[160:161], v[189:190], s[20:21], -v[160:161]
	v_add_f64 v[148:149], v[245:246], v[148:149]
	v_add_f64 v[4:5], v[4:5], v[237:238]
	v_fma_f64 v[166:167], v[187:188], s[20:21], v[166:167]
	v_add_f64 v[10:11], v[162:163], v[10:11]
	v_fma_f64 v[6:7], v[207:208], s[24:25], v[150:151]
	v_mul_f64 v[162:163], v[211:212], s[60:61]
	v_fma_f64 v[237:238], v[197:198], s[2:3], -v[239:240]
	v_add_f64 v[241:242], v[247:248], v[241:242]
	v_fma_f64 v[156:157], v[199:200], s[2:3], -v[156:157]
	v_add_f64 v[148:149], v[160:161], v[148:149]
	v_add_f64 v[4:5], v[170:171], v[4:5]
	v_fma_f64 v[160:161], v[197:198], s[2:3], v[239:240]
	v_add_f64 v[10:11], v[166:167], v[10:11]
	v_mul_f64 v[166:167], v[219:220], s[38:39]
	v_fma_f64 v[170:171], v[203:204], s[24:25], -v[162:163]
	v_add_f64 v[237:238], v[237:238], v[241:242]
	v_fma_f64 v[150:151], v[207:208], s[24:25], -v[150:151]
	v_add_f64 v[148:149], v[156:157], v[148:149]
	v_add_f64 v[4:5], v[6:7], v[4:5]
	v_fma_f64 v[6:7], v[203:204], s[24:25], v[162:163]
	v_add_f64 v[10:11], v[160:161], v[10:11]
	v_mul_f64 v[156:157], v[227:228], s[16:17]
	v_fma_f64 v[160:161], v[213:214], s[34:35], -v[166:167]
	v_add_f64 v[162:163], v[170:171], v[237:238]
	v_mul_f64 v[154:155], v[233:234], s[30:31]
	v_add_f64 v[148:149], v[150:151], v[148:149]
	v_fma_f64 v[150:151], v[213:214], s[34:35], v[166:167]
	v_mul_f64 v[253:254], v[217:218], s[38:39]
	v_add_f64 v[6:7], v[6:7], v[10:11]
	v_mul_f64 v[10:11], v[235:236], s[30:31]
	v_fma_f64 v[166:167], v[221:222], s[8:9], -v[156:157]
	v_add_f64 v[160:161], v[160:161], v[162:163]
	v_fma_f64 v[156:157], v[221:222], s[8:9], v[156:157]
	v_mul_f64 v[158:159], v[225:226], s[16:17]
	v_fma_f64 v[162:163], v[231:232], s[18:19], v[154:155]
	v_fma_f64 v[168:169], v[215:216], s[34:35], v[253:254]
	v_add_f64 v[6:7], v[150:151], v[6:7]
	v_fma_f64 v[170:171], v[215:216], s[34:35], -v[253:254]
	v_mul_f64 v[243:244], v[191:192], s[54:55]
	v_add_f64 v[160:161], v[166:167], v[160:161]
	v_fma_f64 v[166:167], v[231:232], s[18:19], -v[154:155]
	v_add_f64 v[154:155], v[152:153], v[0:1]
	v_fma_f64 v[0:1], v[229:230], s[18:19], v[10:11]
	v_fma_f64 v[164:165], v[223:224], s[8:9], v[158:159]
	v_add_f64 v[6:7], v[156:157], v[6:7]
	v_add_f64 v[4:5], v[168:169], v[4:5]
	v_fma_f64 v[158:159], v[223:224], s[8:9], -v[158:159]
	v_add_f64 v[148:149], v[170:171], v[148:149]
	v_add_f64 v[152:153], v[8:9], v[2:3]
	v_mul_f64 v[2:3], v[185:186], s[50:51]
	v_mul_f64 v[8:9], v[193:194], s[44:45]
	;; [unrolled: 1-line block ×3, first 2 shown]
	v_add_f64 v[156:157], v[0:1], v[6:7]
	v_mul_f64 v[0:1], v[177:178], s[50:51]
	v_add_f64 v[4:5], v[164:165], v[4:5]
	v_add_f64 v[158:159], v[158:159], v[148:149]
	v_mul_f64 v[239:240], v[205:206], s[46:47]
	v_fma_f64 v[6:7], v[175:176], s[48:49], v[2:3]
	v_fma_f64 v[2:3], v[175:176], s[48:49], -v[2:3]
	v_fma_f64 v[245:246], v[179:180], s[2:3], -v[168:169]
	v_mul_f64 v[249:250], v[201:202], s[46:47]
	v_fma_f64 v[170:171], v[173:174], s[48:49], -v[0:1]
	v_add_f64 v[150:151], v[162:163], v[4:5]
	v_add_f64 v[158:159], v[166:167], v[158:159]
	v_mul_f64 v[162:163], v[195:196], s[54:55]
	v_fma_f64 v[166:167], v[181:182], s[2:3], v[8:9]
	v_add_f64 v[6:7], v[94:95], v[6:7]
	v_fma_f64 v[8:9], v[181:182], s[2:3], -v[8:9]
	v_add_f64 v[2:3], v[94:95], v[2:3]
	v_add_f64 v[170:171], v[92:93], v[170:171]
	v_fma_f64 v[251:252], v[187:188], s[34:35], -v[243:244]
	v_fma_f64 v[247:248], v[199:200], s[18:19], v[239:240]
	v_fma_f64 v[241:242], v[189:190], s[34:35], v[162:163]
	v_fma_f64 v[162:163], v[189:190], s[34:35], -v[162:163]
	v_add_f64 v[6:7], v[166:167], v[6:7]
	v_mul_f64 v[166:167], v[209:210], s[16:17]
	v_fma_f64 v[0:1], v[173:174], s[48:49], v[0:1]
	v_add_f64 v[170:171], v[245:246], v[170:171]
	v_add_f64 v[2:3], v[8:9], v[2:3]
	v_mul_f64 v[8:9], v[211:212], s[16:17]
	v_fma_f64 v[245:246], v[197:198], s[18:19], -v[249:250]
	v_fma_f64 v[164:165], v[229:230], s[18:19], -v[10:11]
	v_add_f64 v[6:7], v[241:242], v[6:7]
	v_mul_f64 v[10:11], v[217:218], s[60:61]
	v_fma_f64 v[241:242], v[207:208], s[8:9], v[166:167]
	v_add_f64 v[170:171], v[251:252], v[170:171]
	v_fma_f64 v[239:240], v[199:200], s[18:19], -v[239:240]
	v_fma_f64 v[168:169], v[179:180], s[2:3], v[168:169]
	v_add_f64 v[0:1], v[92:93], v[0:1]
	v_add_f64 v[2:3], v[162:163], v[2:3]
	;; [unrolled: 1-line block ×3, first 2 shown]
	v_mul_f64 v[162:163], v[219:220], s[60:61]
	v_fma_f64 v[247:248], v[203:204], s[8:9], -v[8:9]
	v_add_f64 v[170:171], v[245:246], v[170:171]
	v_mul_f64 v[4:5], v[225:226], s[22:23]
	v_fma_f64 v[237:238], v[215:216], s[24:25], v[10:11]
	v_fma_f64 v[166:167], v[207:208], s[8:9], -v[166:167]
	v_add_f64 v[0:1], v[168:169], v[0:1]
	v_add_f64 v[6:7], v[241:242], v[6:7]
	v_fma_f64 v[241:242], v[187:188], s[34:35], v[243:244]
	v_add_f64 v[2:3], v[239:240], v[2:3]
	v_mul_f64 v[168:169], v[227:228], s[22:23]
	v_fma_f64 v[239:240], v[213:214], s[24:25], -v[162:163]
	v_add_f64 v[170:171], v[247:248], v[170:171]
	v_add_f64 v[148:149], v[164:165], v[160:161]
	v_mul_f64 v[160:161], v[233:234], s[42:43]
	v_fma_f64 v[164:165], v[223:224], s[20:21], v[4:5]
	v_add_f64 v[6:7], v[237:238], v[6:7]
	v_fma_f64 v[10:11], v[215:216], s[24:25], -v[10:11]
	v_fma_f64 v[237:238], v[197:198], s[18:19], v[249:250]
	v_add_f64 v[0:1], v[241:242], v[0:1]
	v_add_f64 v[2:3], v[166:167], v[2:3]
	v_fma_f64 v[166:167], v[221:222], s[20:21], -v[168:169]
	v_add_f64 v[170:171], v[239:240], v[170:171]
	v_mul_f64 v[241:242], v[235:236], s[42:43]
	v_fma_f64 v[239:240], v[231:232], s[28:29], v[160:161]
	v_fma_f64 v[4:5], v[223:224], s[20:21], -v[4:5]
	v_fma_f64 v[8:9], v[203:204], s[8:9], v[8:9]
	v_add_f64 v[0:1], v[237:238], v[0:1]
	v_add_f64 v[2:3], v[10:11], v[2:3]
	v_add_f64 v[6:7], v[164:165], v[6:7]
	v_add_f64 v[164:165], v[166:167], v[170:171]
	v_mul_f64 v[170:171], v[185:186], s[26:27]
	v_fma_f64 v[10:11], v[229:230], s[28:29], -v[241:242]
	v_fma_f64 v[166:167], v[231:232], s[28:29], -v[160:161]
	v_fma_f64 v[237:238], v[213:214], s[24:25], v[162:163]
	v_add_f64 v[0:1], v[8:9], v[0:1]
	v_add_f64 v[2:3], v[4:5], v[2:3]
	;; [unrolled: 1-line block ×3, first 2 shown]
	v_mul_f64 v[4:5], v[193:194], s[16:17]
	v_mul_f64 v[6:7], v[177:178], s[26:27]
	v_fma_f64 v[8:9], v[175:176], s[24:25], v[170:171]
	v_add_f64 v[160:161], v[10:11], v[164:165]
	v_fma_f64 v[10:11], v[221:222], s[20:21], v[168:169]
	v_add_f64 v[0:1], v[237:238], v[0:1]
	v_add_f64 v[166:167], v[166:167], v[2:3]
	v_mul_f64 v[2:3], v[195:196], s[58:59]
	v_fma_f64 v[164:165], v[181:182], s[8:9], v[4:5]
	v_mul_f64 v[168:169], v[183:184], s[16:17]
	v_fma_f64 v[237:238], v[173:174], s[24:25], -v[6:7]
	v_add_f64 v[8:9], v[94:95], v[8:9]
	v_fma_f64 v[239:240], v[229:230], s[28:29], v[241:242]
	v_add_f64 v[0:1], v[10:11], v[0:1]
	v_mul_f64 v[10:11], v[205:206], s[36:37]
	v_fma_f64 v[241:242], v[189:190], s[48:49], v[2:3]
	v_mul_f64 v[243:244], v[191:192], s[58:59]
	v_fma_f64 v[245:246], v[179:180], s[8:9], -v[168:169]
	v_add_f64 v[237:238], v[92:93], v[237:238]
	v_add_f64 v[8:9], v[164:165], v[8:9]
	v_fma_f64 v[170:171], v[175:176], s[24:25], -v[170:171]
	v_mul_f64 v[164:165], v[209:210], s[46:47]
	v_fma_f64 v[249:250], v[199:200], s[20:21], v[10:11]
	v_mul_f64 v[251:252], v[201:202], s[36:37]
	v_fma_f64 v[253:254], v[187:188], s[48:49], -v[243:244]
	v_fma_f64 v[4:5], v[181:182], s[8:9], -v[4:5]
	v_add_f64 v[237:238], v[245:246], v[237:238]
	v_add_f64 v[8:9], v[241:242], v[8:9]
	;; [unrolled: 1-line block ×3, first 2 shown]
	v_mul_f64 v[241:242], v[217:218], s[10:11]
	v_fma_f64 v[245:246], v[207:208], s[18:19], v[164:165]
	v_mul_f64 v[40:41], v[211:212], s[46:47]
	v_fma_f64 v[42:43], v[197:198], s[20:21], -v[251:252]
	v_fma_f64 v[2:3], v[189:190], s[48:49], -v[2:3]
	v_add_f64 v[237:238], v[253:254], v[237:238]
	v_add_f64 v[8:9], v[249:250], v[8:9]
	;; [unrolled: 1-line block ×3, first 2 shown]
	v_mul_f64 v[249:250], v[225:226], s[56:57]
	v_fma_f64 v[253:254], v[215:216], s[2:3], v[241:242]
	v_mul_f64 v[44:45], v[219:220], s[10:11]
	v_fma_f64 v[46:47], v[203:204], s[18:19], -v[40:41]
	v_fma_f64 v[10:11], v[199:200], s[20:21], -v[10:11]
	v_add_f64 v[42:43], v[42:43], v[237:238]
	v_add_f64 v[8:9], v[245:246], v[8:9]
	v_fma_f64 v[6:7], v[173:174], s[24:25], v[6:7]
	v_add_f64 v[2:3], v[2:3], v[4:5]
	v_mul_f64 v[247:248], v[233:234], s[54:55]
	v_fma_f64 v[170:171], v[223:224], s[28:29], v[249:250]
	v_mul_f64 v[237:238], v[227:228], s[56:57]
	v_fma_f64 v[245:246], v[213:214], s[2:3], -v[44:45]
	v_add_f64 v[4:5], v[46:47], v[42:43]
	v_add_f64 v[8:9], v[253:254], v[8:9]
	v_fma_f64 v[164:165], v[207:208], s[18:19], -v[164:165]
	v_fma_f64 v[168:169], v[179:180], s[8:9], v[168:169]
	v_add_f64 v[6:7], v[92:93], v[6:7]
	v_add_f64 v[2:3], v[10:11], v[2:3]
	v_fma_f64 v[46:47], v[221:222], s[28:29], -v[237:238]
	v_fma_f64 v[10:11], v[231:232], s[34:35], v[247:248]
	;; [unrolled: 4-line block ×3, first 2 shown]
	v_add_f64 v[6:7], v[168:169], v[6:7]
	v_add_f64 v[2:3], v[164:165], v[2:3]
	v_mul_f64 v[42:43], v[235:236], s[54:55]
	v_add_f64 v[164:165], v[239:240], v[0:1]
	v_add_f64 v[4:5], v[46:47], v[4:5]
	;; [unrolled: 1-line block ×3, first 2 shown]
	v_fma_f64 v[0:1], v[223:224], s[28:29], -v[249:250]
	v_fma_f64 v[8:9], v[197:198], s[20:21], v[251:252]
	v_mul_f64 v[10:11], v[185:186], s[46:47]
	v_add_f64 v[6:7], v[243:244], v[6:7]
	v_add_f64 v[2:3], v[241:242], v[2:3]
	v_mul_f64 v[46:47], v[177:178], s[46:47]
	v_fma_f64 v[245:246], v[229:230], s[34:35], -v[42:43]
	v_fma_f64 v[40:41], v[203:204], s[18:19], v[40:41]
	v_mul_f64 v[239:240], v[193:194], s[42:43]
	v_mul_f64 v[243:244], v[195:196], s[40:41]
	v_fma_f64 v[241:242], v[175:176], s[18:19], v[10:11]
	v_add_f64 v[6:7], v[8:9], v[6:7]
	v_add_f64 v[0:1], v[0:1], v[2:3]
	v_fma_f64 v[2:3], v[213:214], s[2:3], v[44:45]
	v_mul_f64 v[8:9], v[183:184], s[42:43]
	v_fma_f64 v[44:45], v[173:174], s[18:19], -v[46:47]
	v_add_f64 v[168:169], v[245:246], v[4:5]
	v_fma_f64 v[4:5], v[231:232], s[34:35], -v[247:248]
	v_fma_f64 v[245:246], v[181:182], s[28:29], v[239:240]
	v_add_f64 v[241:242], v[94:95], v[241:242]
	v_add_f64 v[6:7], v[40:41], v[6:7]
	v_fma_f64 v[40:41], v[221:222], s[28:29], v[237:238]
	v_mul_f64 v[247:248], v[191:192], s[40:41]
	v_fma_f64 v[237:238], v[179:180], s[28:29], -v[8:9]
	v_add_f64 v[44:45], v[92:93], v[44:45]
	v_mul_f64 v[249:250], v[205:206], s[58:59]
	v_fma_f64 v[251:252], v[189:190], s[8:9], v[243:244]
	v_add_f64 v[241:242], v[245:246], v[241:242]
	v_add_f64 v[2:3], v[2:3], v[6:7]
	v_mul_f64 v[6:7], v[201:202], s[58:59]
	v_fma_f64 v[245:246], v[187:188], s[8:9], -v[247:248]
	v_fma_f64 v[10:11], v[175:176], s[18:19], -v[10:11]
	v_add_f64 v[44:45], v[237:238], v[44:45]
	v_mul_f64 v[237:238], v[209:210], s[54:55]
	v_fma_f64 v[253:254], v[199:200], s[48:49], v[249:250]
	v_add_f64 v[241:242], v[251:252], v[241:242]
	v_mul_f64 v[251:252], v[211:212], s[54:55]
	v_fma_f64 v[12:13], v[197:198], s[48:49], -v[6:7]
	buffer_store_dword v15, off, s[64:67], 0 offset:188 ; 4-byte Folded Spill
	v_fma_f64 v[14:15], v[181:182], s[28:29], -v[239:240]
	v_add_f64 v[10:11], v[94:95], v[10:11]
	v_add_f64 v[44:45], v[245:246], v[44:45]
	v_mov_b32_e32 v36, v88
	v_mov_b32_e32 v37, v89
	;; [unrolled: 1-line block ×5, first 2 shown]
	v_mul_f64 v[239:240], v[217:218], s[22:23]
	v_fma_f64 v[245:246], v[207:208], s[34:35], v[237:238]
	v_add_f64 v[241:242], v[253:254], v[241:242]
	v_mul_f64 v[253:254], v[219:220], s[22:23]
	v_fma_f64 v[60:61], v[203:204], s[34:35], -v[251:252]
	v_mov_b32_e32 v90, v64
	v_mov_b32_e32 v89, v63
	v_mov_b32_e32 v88, v62
	v_fma_f64 v[62:63], v[189:190], s[8:9], -v[243:244]
	v_add_f64 v[10:11], v[14:15], v[10:11]
	v_add_f64 v[12:13], v[12:13], v[44:45]
	v_mul_f64 v[14:15], v[225:226], s[26:27]
	v_fma_f64 v[44:45], v[215:216], s[20:21], v[239:240]
	v_add_f64 v[241:242], v[245:246], v[241:242]
	v_mul_f64 v[245:246], v[227:228], s[26:27]
	v_fma_f64 v[243:244], v[213:214], s[20:21], -v[253:254]
	v_fma_f64 v[249:250], v[199:200], s[48:49], -v[249:250]
	v_add_f64 v[10:11], v[62:63], v[10:11]
	v_add_f64 v[12:13], v[60:61], v[12:13]
	v_mov_b32_e32 v35, v27
	v_mov_b32_e32 v34, v26
	;; [unrolled: 1-line block ×5, first 2 shown]
	v_mul_f64 v[60:61], v[233:234], s[10:11]
	v_fma_f64 v[62:63], v[223:224], s[24:25], v[14:15]
	v_add_f64 v[44:45], v[44:45], v[241:242]
	v_mul_f64 v[64:65], v[235:236], s[10:11]
	v_mov_b32_e32 v25, v67
	v_mov_b32_e32 v26, v68
	;; [unrolled: 1-line block ×3, first 2 shown]
	v_fma_f64 v[66:67], v[221:222], s[24:25], -v[245:246]
	v_fma_f64 v[237:238], v[207:208], s[34:35], -v[237:238]
	v_add_f64 v[10:11], v[249:250], v[10:11]
	v_add_f64 v[12:13], v[243:244], v[12:13]
	v_fma_f64 v[42:43], v[229:230], s[34:35], v[42:43]
	v_add_f64 v[2:3], v[40:41], v[2:3]
	v_fma_f64 v[40:41], v[231:232], s[2:3], v[60:61]
	v_add_f64 v[44:45], v[62:63], v[44:45]
	v_fma_f64 v[62:63], v[229:230], s[2:3], -v[64:65]
	v_fma_f64 v[241:242], v[215:216], s[20:21], -v[239:240]
	v_add_f64 v[10:11], v[237:238], v[10:11]
	v_add_f64 v[12:13], v[66:67], v[12:13]
	;; [unrolled: 1-line block ×3, first 2 shown]
	v_fma_f64 v[0:1], v[173:174], s[18:19], v[46:47]
	v_mul_f64 v[4:5], v[185:186], s[38:39]
	v_add_f64 v[237:238], v[42:43], v[2:3]
	v_add_f64 v[243:244], v[40:41], v[44:45]
	v_fma_f64 v[2:3], v[223:224], s[24:25], -v[14:15]
	v_add_f64 v[10:11], v[241:242], v[10:11]
	v_add_f64 v[241:242], v[62:63], v[12:13]
	v_fma_f64 v[8:9], v[179:180], s[28:29], v[8:9]
	v_mul_f64 v[12:13], v[177:178], s[38:39]
	v_add_f64 v[0:1], v[92:93], v[0:1]
	v_mul_f64 v[40:41], v[193:194], s[26:27]
	v_fma_f64 v[42:43], v[175:176], s[34:35], v[4:5]
	v_fma_f64 v[14:15], v[231:232], s[2:3], -v[60:61]
	v_add_f64 v[2:3], v[2:3], v[10:11]
	v_fma_f64 v[10:11], v[187:188], s[8:9], v[247:248]
	v_mul_f64 v[44:45], v[183:184], s[26:27]
	v_fma_f64 v[46:47], v[173:174], s[34:35], -v[12:13]
	v_add_f64 v[0:1], v[8:9], v[0:1]
	v_mul_f64 v[8:9], v[195:196], s[42:43]
	v_fma_f64 v[60:61], v[181:182], s[24:25], v[40:41]
	v_add_f64 v[42:43], v[94:95], v[42:43]
	v_fma_f64 v[6:7], v[197:198], s[48:49], v[6:7]
	v_mul_f64 v[62:63], v[191:192], s[42:43]
	v_fma_f64 v[66:67], v[179:180], s[24:25], -v[44:45]
	v_add_f64 v[46:47], v[92:93], v[46:47]
	v_add_f64 v[0:1], v[10:11], v[0:1]
	v_mul_f64 v[10:11], v[205:206], s[16:17]
	v_fma_f64 v[247:248], v[189:190], s[28:29], v[8:9]
	v_add_f64 v[42:43], v[60:61], v[42:43]
	v_fma_f64 v[60:61], v[203:204], s[34:35], v[251:252]
	v_mov_b32_e32 v28, v70
	v_mov_b32_e32 v29, v71
	v_add_f64 v[46:47], v[66:67], v[46:47]
	v_add_f64 v[0:1], v[6:7], v[0:1]
	v_mul_f64 v[6:7], v[209:210], s[44:45]
	v_fma_f64 v[66:67], v[199:200], s[8:9], v[10:11]
	v_add_f64 v[42:43], v[247:248], v[42:43]
	v_mov_b32_e32 v30, v72
	v_mov_b32_e32 v31, v73
	v_mul_f64 v[249:250], v[201:202], s[16:17]
	v_fma_f64 v[251:252], v[187:188], s[28:29], -v[62:63]
	v_fma_f64 v[247:248], v[213:214], s[20:21], v[253:254]
	v_add_f64 v[0:1], v[60:61], v[0:1]
	v_mul_f64 v[60:61], v[217:218], s[58:59]
	v_fma_f64 v[70:71], v[207:208], s[2:3], v[6:7]
	v_add_f64 v[42:43], v[66:67], v[42:43]
	v_mul_f64 v[253:254], v[211:212], s[44:45]
	v_fma_f64 v[68:69], v[197:198], s[8:9], -v[249:250]
	v_add_f64 v[46:47], v[251:252], v[46:47]
	v_fma_f64 v[4:5], v[175:176], s[34:35], -v[4:5]
	v_add_f64 v[0:1], v[247:248], v[0:1]
	v_fma_f64 v[247:248], v[215:216], s[48:49], v[60:61]
	v_fma_f64 v[66:67], v[221:222], s[24:25], v[245:246]
	v_add_f64 v[42:43], v[70:71], v[42:43]
	v_mul_f64 v[251:252], v[219:220], s[58:59]
	v_fma_f64 v[245:246], v[203:204], s[2:3], -v[253:254]
	v_add_f64 v[46:47], v[68:69], v[46:47]
	v_add_f64 v[4:5], v[94:95], v[4:5]
	v_fma_f64 v[8:9], v[189:190], s[28:29], -v[8:9]
	v_fma_f64 v[10:11], v[199:200], s[8:9], -v[10:11]
	v_fma_f64 v[6:7], v[207:208], s[2:3], -v[6:7]
	v_add_f64 v[42:43], v[247:248], v[42:43]
	v_add_f64 v[247:248], v[14:15], v[2:3]
	v_fma_f64 v[2:3], v[181:182], s[24:25], -v[40:41]
	v_fma_f64 v[72:73], v[213:214], s[48:49], -v[251:252]
	v_add_f64 v[46:47], v[245:246], v[46:47]
	v_mul_f64 v[68:69], v[225:226], s[30:31]
	v_fma_f64 v[64:65], v[229:230], s[2:3], v[64:65]
	v_mul_f64 v[70:71], v[227:228], s[30:31]
	v_add_f64 v[0:1], v[66:67], v[0:1]
	v_mul_f64 v[66:67], v[233:234], s[36:37]
	v_add_f64 v[2:3], v[2:3], v[4:5]
	v_fma_f64 v[4:5], v[215:216], s[48:49], -v[60:61]
	v_add_f64 v[46:47], v[72:73], v[46:47]
	v_add_f64 v[72:73], v[92:93], v[96:97]
	v_fma_f64 v[74:75], v[223:224], s[18:19], v[68:69]
	v_fma_f64 v[78:79], v[221:222], s[18:19], -v[70:71]
	v_add_f64 v[245:246], v[64:65], v[0:1]
	v_fma_f64 v[64:65], v[223:224], s[18:19], -v[68:69]
	v_add_f64 v[2:3], v[8:9], v[2:3]
	v_fma_f64 v[8:9], v[187:188], s[28:29], v[62:63]
	v_add_f64 v[62:63], v[94:95], v[98:99]
	v_add_f64 v[72:73], v[100:101], v[72:73]
	;; [unrolled: 1-line block ×4, first 2 shown]
	v_fma_f64 v[46:47], v[231:232], s[20:21], -v[66:67]
	v_mul_f64 v[76:77], v[235:236], s[36:37]
	v_add_f64 v[2:3], v[10:11], v[2:3]
	v_fma_f64 v[0:1], v[231:232], s[20:21], v[66:67]
	v_add_f64 v[62:63], v[102:103], v[62:63]
	v_add_f64 v[72:73], v[104:105], v[72:73]
	v_fma_f64 v[12:13], v[173:174], s[34:35], v[12:13]
	v_mul_f64 v[66:67], v[185:186], s[22:23]
	v_fma_f64 v[44:45], v[179:180], s[24:25], v[44:45]
	v_fma_f64 v[40:41], v[229:230], s[20:21], -v[76:77]
	v_add_f64 v[2:3], v[6:7], v[2:3]
	v_mul_f64 v[60:61], v[193:194], s[38:39]
	v_add_f64 v[62:63], v[106:107], v[62:63]
	v_add_f64 v[72:73], v[120:121], v[72:73]
	;; [unrolled: 1-line block ×3, first 2 shown]
	v_fma_f64 v[68:69], v[175:176], s[20:21], v[66:67]
	v_fma_f64 v[66:67], v[175:176], s[20:21], -v[66:67]
	v_mul_f64 v[102:103], v[183:184], s[38:39]
	v_add_f64 v[2:3], v[4:5], v[2:3]
	v_fma_f64 v[74:75], v[181:182], s[34:35], v[60:61]
	v_add_f64 v[62:63], v[122:123], v[62:63]
	v_mul_f64 v[106:107], v[191:192], s[46:47]
	v_add_f64 v[12:13], v[44:45], v[12:13]
	v_mul_f64 v[44:45], v[195:196], s[46:47]
	v_add_f64 v[68:69], v[94:95], v[68:69]
	v_fma_f64 v[60:61], v[181:182], s[34:35], -v[60:61]
	v_add_f64 v[2:3], v[64:65], v[2:3]
	v_fma_f64 v[64:65], v[221:222], s[18:19], v[70:71]
	v_add_f64 v[62:63], v[126:127], v[62:63]
	v_add_f64 v[70:71], v[124:125], v[72:73]
	;; [unrolled: 1-line block ×3, first 2 shown]
	v_fma_f64 v[94:95], v[179:180], s[34:35], v[102:103]
	v_fma_f64 v[102:103], v[179:180], s[34:35], -v[102:103]
	v_fma_f64 v[78:79], v[189:190], s[18:19], v[44:45]
	v_add_f64 v[96:97], v[46:47], v[2:3]
	v_fma_f64 v[46:47], v[229:230], s[20:21], v[76:77]
	v_add_f64 v[2:3], v[134:135], v[62:63]
	v_add_f64 v[62:63], v[132:133], v[70:71]
	v_mul_f64 v[76:77], v[177:178], s[22:23]
	v_mul_f64 v[100:101], v[201:202], s[26:27]
	v_fma_f64 v[44:45], v[189:190], s[18:19], -v[44:45]
	v_add_f64 v[60:61], v[60:61], v[66:67]
	v_fma_f64 v[66:67], v[187:188], s[18:19], v[106:107]
	v_fma_f64 v[6:7], v[203:204], s[2:3], v[253:254]
	v_add_f64 v[2:3], v[130:131], v[2:3]
	v_add_f64 v[62:63], v[128:129], v[62:63]
	v_fma_f64 v[104:105], v[173:174], s[20:21], v[76:77]
	v_fma_f64 v[76:77], v[173:174], s[20:21], -v[76:77]
	v_fma_f64 v[4:5], v[213:214], s[48:49], v[251:252]
	v_add_f64 v[44:45], v[44:45], v[60:61]
	v_fma_f64 v[60:61], v[197:198], s[24:25], v[100:101]
	buffer_load_dword v251, off, s[64:67], 0 offset:140 ; 4-byte Folded Reload
	buffer_load_dword v252, off, s[64:67], 0 offset:144 ; 4-byte Folded Reload
	;; [unrolled: 1-line block ×4, first 2 shown]
	v_add_f64 v[2:3], v[118:119], v[2:3]
	v_add_f64 v[62:63], v[116:117], v[62:63]
	;; [unrolled: 1-line block ×4, first 2 shown]
	v_fma_f64 v[10:11], v[197:198], s[8:9], v[249:250]
	v_add_f64 v[8:9], v[8:9], v[12:13]
	v_mul_f64 v[12:13], v[205:206], s[26:27]
	v_add_f64 v[68:69], v[74:75], v[68:69]
	v_add_f64 v[2:3], v[114:115], v[2:3]
	;; [unrolled: 1-line block ×4, first 2 shown]
	v_fma_f64 v[94:95], v[187:188], s[18:19], -v[106:107]
	v_add_f64 v[76:77], v[102:103], v[76:77]
	v_add_f64 v[8:9], v[10:11], v[8:9]
	v_mul_f64 v[10:11], v[209:210], s[50:51]
	v_fma_f64 v[74:75], v[199:200], s[24:25], v[12:13]
	v_add_f64 v[2:3], v[110:111], v[2:3]
	v_add_f64 v[62:63], v[108:109], v[62:63]
	v_fma_f64 v[12:13], v[199:200], s[24:25], -v[12:13]
	v_add_f64 v[68:69], v[78:79], v[68:69]
	v_mul_f64 v[98:99], v[211:212], s[50:51]
	v_add_f64 v[6:7], v[6:7], v[8:9]
	v_mul_f64 v[8:9], v[217:218], s[42:43]
	v_fma_f64 v[78:79], v[207:208], s[48:49], v[10:11]
	v_add_f64 v[2:3], v[22:23], v[2:3]
	v_add_f64 v[20:21], v[20:21], v[62:63]
	v_add_f64 v[22:23], v[66:67], v[92:93]
	v_fma_f64 v[62:63], v[197:198], s[24:25], -v[100:101]
	v_add_f64 v[66:67], v[94:95], v[76:77]
	v_fma_f64 v[10:11], v[207:208], s[48:49], -v[10:11]
	v_add_f64 v[12:13], v[12:13], v[44:45]
	v_add_f64 v[68:69], v[74:75], v[68:69]
	;; [unrolled: 1-line block ×5, first 2 shown]
	v_mul_f64 v[6:7], v[225:226], s[10:11]
	v_add_f64 v[22:23], v[62:63], v[66:67]
	buffer_load_dword v60, off, s[64:67], 0 offset:4 ; 4-byte Folded Reload
	buffer_load_dword v61, off, s[64:67], 0 offset:8 ; 4-byte Folded Reload
	buffer_load_dword v62, off, s[64:67], 0 offset:12 ; 4-byte Folded Reload
	buffer_load_dword v63, off, s[64:67], 0 offset:16 ; 4-byte Folded Reload
	v_fma_f64 v[72:73], v[215:216], s[28:29], v[8:9]
	v_add_f64 v[16:17], v[16:17], v[20:21]
	v_fma_f64 v[8:9], v[215:216], s[28:29], -v[8:9]
	v_add_f64 v[10:11], v[10:11], v[12:13]
	v_add_f64 v[68:69], v[78:79], v[68:69]
	v_mul_f64 v[78:79], v[219:220], s[42:43]
	v_fma_f64 v[44:45], v[203:204], s[48:49], v[98:99]
	v_add_f64 v[64:65], v[64:65], v[4:5]
	v_mul_f64 v[4:5], v[233:234], s[16:17]
	v_fma_f64 v[70:71], v[223:224], s[2:3], v[6:7]
	v_fma_f64 v[20:21], v[203:204], s[48:49], -v[98:99]
	v_fma_f64 v[6:7], v[223:224], s[2:3], -v[6:7]
	v_add_f64 v[8:9], v[8:9], v[10:11]
	v_mul_f64 v[74:75], v[227:228], s[10:11]
	v_fma_f64 v[12:13], v[213:214], s[28:29], v[78:79]
	v_add_f64 v[18:19], v[44:45], v[18:19]
	v_fma_f64 v[44:45], v[213:214], s[28:29], -v[78:79]
	v_add_f64 v[68:69], v[72:73], v[68:69]
	v_add_f64 v[20:21], v[20:21], v[22:23]
	v_fma_f64 v[22:23], v[231:232], s[8:9], -v[4:5]
	v_add_f64 v[6:7], v[6:7], v[8:9]
	v_fma_f64 v[10:11], v[221:222], s[2:3], v[74:75]
	v_mul_f64 v[72:73], v[235:236], s[16:17]
	v_add_f64 v[12:13], v[12:13], v[18:19]
	v_fma_f64 v[18:19], v[221:222], s[2:3], -v[74:75]
	v_add_f64 v[94:95], v[46:47], v[64:65]
	v_add_f64 v[20:21], v[44:45], v[20:21]
	v_fma_f64 v[44:45], v[229:230], s[8:9], v[72:73]
	v_add_f64 v[10:11], v[10:11], v[12:13]
	v_add_f64 v[12:13], v[0:1], v[14:15]
	v_fma_f64 v[66:67], v[229:230], s[8:9], -v[72:73]
	v_add_f64 v[18:19], v[18:19], v[20:21]
	v_add_f64 v[14:15], v[66:67], v[18:19]
	s_waitcnt vmcnt(2)
	v_add_f64 v[16:17], v[60:61], v[16:17]
	s_waitcnt vmcnt(0)
	v_add_f64 v[2:3], v[62:63], v[2:3]
	v_fma_f64 v[60:61], v[231:232], s[8:9], v[4:5]
	v_add_f64 v[4:5], v[22:23], v[6:7]
	v_add_f64 v[62:63], v[70:71], v[68:69]
	v_mov_b32_e32 v69, v27
	v_mov_b32_e32 v73, v31
	v_mov_b32_e32 v68, v26
	v_add_f64 v[16:17], v[84:85], v[16:17]
	v_add_f64 v[2:3], v[86:87], v[2:3]
	buffer_load_dword v84, off, s[64:67], 0 offset:156 ; 4-byte Folded Reload
	buffer_load_dword v85, off, s[64:67], 0 offset:160 ; 4-byte Folded Reload
	;; [unrolled: 1-line block ×8, first 2 shown]
	v_mov_b32_e32 v67, v25
	v_mov_b32_e32 v66, v24
	;; [unrolled: 1-line block ×4, first 2 shown]
	v_add_f64 v[16:17], v[80:81], v[16:17]
	buffer_load_dword v78, off, s[64:67], 0 offset:124 ; 4-byte Folded Reload
	buffer_load_dword v79, off, s[64:67], 0 offset:128 ; 4-byte Folded Reload
	;; [unrolled: 1-line block ×9, first 2 shown]
	v_add_f64 v[2:3], v[82:83], v[2:3]
	v_mov_b32_e32 v71, v29
	v_mov_b32_e32 v70, v28
	;; [unrolled: 1-line block ×5, first 2 shown]
	s_waitcnt vmcnt(1)
	v_add_f64 v[8:9], v[8:9], v[2:3]
	v_add_f64 v[6:7], v[6:7], v[16:17]
	;; [unrolled: 1-line block ×4, first 2 shown]
	v_mov_b32_e32 v62, v88
	v_mov_b32_e32 v63, v89
	;; [unrolled: 1-line block ×8, first 2 shown]
	s_waitcnt vmcnt(0)
	v_lshlrev_b32_e32 v0, 4, v0
	v_add_f64 v[10:11], v[40:41], v[42:43]
	ds_write_b128 v0, v[6:9]
	ds_write_b128 v0, v[2:5] offset:16
	ds_write_b128 v0, v[94:97] offset:32
	;; [unrolled: 1-line block ×16, first 2 shown]
.LBB0_17:
	s_or_b64 exec, exec, s[52:53]
	s_waitcnt lgkmcnt(0)
	s_barrier
	ds_read_b128 v[0:3], v255
	ds_read_b128 v[4:7], v255 offset:2992
	ds_read_b128 v[8:11], v255 offset:5984
	;; [unrolled: 1-line block ×5, first 2 shown]
	buffer_load_dword v32, off, s[64:67], 0 offset:44 ; 4-byte Folded Reload
	buffer_load_dword v33, off, s[64:67], 0 offset:48 ; 4-byte Folded Reload
	;; [unrolled: 1-line block ×8, first 2 shown]
	ds_read_b128 v[92:95], v255 offset:17952
	ds_read_b128 v[96:99], v255 offset:20944
	s_waitcnt lgkmcnt(4)
	v_mul_f64 v[44:45], v[26:27], v[14:15]
	s_waitcnt lgkmcnt(2)
	v_mul_f64 v[36:37], v[54:55], v[20:21]
	s_mov_b32 s2, 0x667f3bcd
	s_mov_b32 s3, 0xbfe6a09e
	;; [unrolled: 1-line block ×4, first 2 shown]
	s_waitcnt vmcnt(0) lgkmcnt(0)
	s_barrier
	v_mul_f64 v[40:41], v[34:35], v[6:7]
	v_mul_f64 v[38:39], v[34:35], v[4:5]
	;; [unrolled: 1-line block ×6, first 2 shown]
	v_fma_f64 v[12:13], v[24:25], v[12:13], v[44:45]
	v_fma_f64 v[4:5], v[32:33], v[4:5], v[40:41]
	v_fma_f64 v[6:7], v[32:33], v[6:7], -v[38:39]
	v_fma_f64 v[8:9], v[28:29], v[8:9], v[42:43]
	v_fma_f64 v[10:11], v[28:29], v[10:11], -v[34:35]
	v_fma_f64 v[14:15], v[24:25], v[14:15], -v[30:31]
	v_mul_f64 v[28:29], v[253:254], v[18:19]
	v_mul_f64 v[30:31], v[58:59], v[94:95]
	;; [unrolled: 1-line block ×6, first 2 shown]
	v_fma_f64 v[18:19], v[251:252], v[18:19], -v[26:27]
	v_fma_f64 v[22:23], v[52:53], v[22:23], -v[36:37]
	v_fma_f64 v[16:17], v[251:252], v[16:17], v[28:29]
	v_fma_f64 v[24:25], v[56:57], v[92:93], v[30:31]
	v_fma_f64 v[26:27], v[56:57], v[94:95], -v[32:33]
	v_fma_f64 v[20:21], v[52:53], v[20:21], v[34:35]
	v_fma_f64 v[28:29], v[48:49], v[96:97], v[38:39]
	v_fma_f64 v[30:31], v[48:49], v[98:99], -v[40:41]
	v_add_f64 v[18:19], v[2:3], -v[18:19]
	v_add_f64 v[22:23], v[6:7], -v[22:23]
	;; [unrolled: 1-line block ×8, first 2 shown]
	v_fma_f64 v[2:3], v[2:3], 2.0, -v[18:19]
	v_fma_f64 v[6:7], v[6:7], 2.0, -v[22:23]
	;; [unrolled: 1-line block ×8, first 2 shown]
	v_add_f64 v[32:33], v[16:17], v[26:27]
	v_add_f64 v[34:35], v[18:19], -v[24:25]
	v_add_f64 v[26:27], v[20:21], v[30:31]
	v_add_f64 v[24:25], v[22:23], -v[28:29]
	v_add_f64 v[8:9], v[0:1], -v[8:9]
	;; [unrolled: 1-line block ×5, first 2 shown]
	v_fma_f64 v[36:37], v[16:17], 2.0, -v[32:33]
	v_fma_f64 v[38:39], v[18:19], 2.0, -v[34:35]
	;; [unrolled: 1-line block ×8, first 2 shown]
	v_fma_f64 v[40:41], v[26:27], s[8:9], v[32:33]
	v_fma_f64 v[42:43], v[24:25], s[8:9], v[34:35]
	;; [unrolled: 1-line block ×4, first 2 shown]
	v_add_f64 v[16:17], v[0:1], -v[4:5]
	v_add_f64 v[18:19], v[2:3], -v[6:7]
	v_fma_f64 v[24:25], v[24:25], s[8:9], v[40:41]
	v_fma_f64 v[26:27], v[26:27], s[2:3], v[42:43]
	;; [unrolled: 1-line block ×4, first 2 shown]
	v_add_f64 v[28:29], v[8:9], v[14:15]
	v_add_f64 v[30:31], v[10:11], -v[12:13]
	v_fma_f64 v[0:1], v[0:1], 2.0, -v[16:17]
	v_fma_f64 v[2:3], v[2:3], 2.0, -v[18:19]
	;; [unrolled: 1-line block ×8, first 2 shown]
	ds_write_b128 v172, v[0:3]
	ds_write_b128 v172, v[4:7] offset:272
	ds_write_b128 v172, v[8:11] offset:544
	;; [unrolled: 1-line block ×7, first 2 shown]
	s_waitcnt lgkmcnt(0)
	s_barrier
	s_and_saveexec_b64 s[2:3], s[0:1]
	s_cbranch_execz .LBB0_19
; %bb.18:
	ds_read_b128 v[0:3], v255
	ds_read_b128 v[4:7], v255 offset:2176
	ds_read_b128 v[8:11], v255 offset:4352
	;; [unrolled: 1-line block ×10, first 2 shown]
.LBB0_19:
	s_or_b64 exec, exec, s[2:3]
	s_and_saveexec_b64 s[2:3], s[0:1]
	s_cbranch_execz .LBB0_21
; %bb.20:
	buffer_load_dword v56, off, s[64:67], 0 offset:92 ; 4-byte Folded Reload
	buffer_load_dword v57, off, s[64:67], 0 offset:96 ; 4-byte Folded Reload
	;; [unrolled: 1-line block ×12, first 2 shown]
	s_waitcnt lgkmcnt(6)
	v_mul_f64 v[40:41], v[68:69], v[18:19]
	v_mul_f64 v[44:45], v[68:69], v[16:17]
	s_waitcnt lgkmcnt(0)
	v_mul_f64 v[68:69], v[72:73], v[136:137]
	s_mov_b32 s22, 0xfd768dbf
	s_mov_b32 s23, 0xbfd207e7
	;; [unrolled: 1-line block ×26, first 2 shown]
	s_waitcnt vmcnt(8)
	v_mul_f64 v[32:33], v[58:59], v[22:23]
	s_waitcnt vmcnt(4)
	v_mul_f64 v[34:35], v[54:55], v[30:31]
	v_mul_f64 v[36:37], v[58:59], v[20:21]
	s_waitcnt vmcnt(0)
	v_mul_f64 v[42:43], v[50:51], v[26:27]
	v_mul_f64 v[46:47], v[50:51], v[24:25]
	;; [unrolled: 1-line block ×3, first 2 shown]
	v_fma_f64 v[32:33], v[56:57], v[20:21], v[32:33]
	v_fma_f64 v[20:21], v[52:53], v[28:29], v[34:35]
	;; [unrolled: 1-line block ×3, first 2 shown]
	v_mul_f64 v[40:41], v[64:65], v[14:15]
	v_fma_f64 v[28:29], v[56:57], v[22:23], -v[36:37]
	v_fma_f64 v[22:23], v[48:49], v[24:25], v[42:43]
	v_mul_f64 v[42:43], v[90:91], v[146:147]
	v_fma_f64 v[26:27], v[48:49], v[26:27], -v[46:47]
	v_fma_f64 v[36:37], v[66:67], v[18:19], -v[44:45]
	v_mul_f64 v[46:47], v[80:81], v[6:7]
	v_mul_f64 v[66:67], v[80:81], v[4:5]
	v_fma_f64 v[48:49], v[62:63], v[12:13], v[40:41]
	v_mul_f64 v[40:41], v[64:65], v[12:13]
	v_fma_f64 v[24:25], v[52:53], v[30:31], -v[38:39]
	v_fma_f64 v[18:19], v[88:89], v[144:145], v[42:43]
	v_mul_f64 v[42:43], v[90:91], v[144:145]
	v_add_f64 v[38:39], v[34:35], -v[22:23]
	v_add_f64 v[30:31], v[32:33], -v[20:21]
	v_add_f64 v[12:13], v[26:27], v[36:37]
	v_add_f64 v[98:99], v[36:37], -v[26:27]
	v_fma_f64 v[50:51], v[62:63], v[14:15], -v[40:41]
	v_mul_f64 v[62:63], v[72:73], v[138:139]
	v_mul_f64 v[40:41], v[76:77], v[10:11]
	v_fma_f64 v[14:15], v[88:89], v[146:147], -v[42:43]
	v_mul_f64 v[42:43], v[86:87], v[142:143]
	v_fma_f64 v[72:73], v[78:79], v[4:5], v[46:47]
	v_mul_f64 v[4:5], v[76:77], v[8:9]
	v_fma_f64 v[76:77], v[78:79], v[6:7], -v[66:67]
	v_add_f64 v[56:57], v[48:49], -v[18:19]
	v_fma_f64 v[46:47], v[70:71], v[136:137], v[62:63]
	v_fma_f64 v[58:59], v[74:75], v[8:9], v[40:41]
	v_mul_f64 v[40:41], v[86:87], v[140:141]
	v_fma_f64 v[52:53], v[84:85], v[140:141], v[42:43]
	v_fma_f64 v[8:9], v[70:71], v[138:139], -v[68:69]
	v_fma_f64 v[82:83], v[74:75], v[10:11], -v[4:5]
	v_add_f64 v[54:55], v[14:15], v[50:51]
	v_mul_f64 v[64:65], v[56:57], s[16:17]
	v_add_f64 v[80:81], v[72:73], -v[46:47]
	v_add_f64 v[90:91], v[46:47], v[72:73]
	v_fma_f64 v[10:11], v[84:85], v[142:143], -v[40:41]
	v_add_f64 v[78:79], v[58:59], -v[52:53]
	v_add_f64 v[84:85], v[76:77], -v[8:9]
	v_add_f64 v[86:87], v[8:9], v[76:77]
	v_add_f64 v[94:95], v[50:51], -v[14:15]
	v_add_f64 v[96:97], v[58:59], v[52:53]
	v_mul_f64 v[4:5], v[80:81], s[22:23]
	v_mul_f64 v[60:61], v[38:39], s[8:9]
	v_add_f64 v[88:89], v[82:83], -v[10:11]
	v_mul_f64 v[6:7], v[78:79], s[28:29]
	v_mul_f64 v[40:41], v[84:85], s[22:23]
	v_add_f64 v[92:93], v[82:83], v[10:11]
	v_add_f64 v[100:101], v[18:19], v[48:49]
	v_mul_f64 v[70:71], v[94:95], s[16:17]
	v_fma_f64 v[42:43], v[86:87], s[20:21], v[4:5]
	v_fma_f64 v[4:5], v[86:87], s[20:21], -v[4:5]
	v_mul_f64 v[62:63], v[88:89], s[28:29]
	v_fma_f64 v[102:103], v[54:55], s[18:19], v[64:65]
	v_fma_f64 v[66:67], v[90:91], s[20:21], -v[40:41]
	v_fma_f64 v[68:69], v[92:93], s[24:25], v[6:7]
	v_fma_f64 v[6:7], v[92:93], s[24:25], -v[6:7]
	v_add_f64 v[16:17], v[28:29], v[24:25]
	v_add_f64 v[42:43], v[2:3], v[42:43]
	;; [unrolled: 1-line block ×3, first 2 shown]
	v_fma_f64 v[74:75], v[96:97], s[24:25], -v[62:63]
	v_mul_f64 v[44:45], v[30:31], s[0:1]
	v_add_f64 v[66:67], v[0:1], v[66:67]
	v_add_f64 v[104:105], v[28:29], -v[24:25]
	v_add_f64 v[106:107], v[22:23], v[34:35]
	v_fma_f64 v[108:109], v[100:101], s[18:19], -v[70:71]
	v_add_f64 v[42:43], v[68:69], v[42:43]
	v_mul_f64 v[68:69], v[98:99], s[8:9]
	v_fma_f64 v[64:65], v[54:55], s[18:19], -v[64:65]
	v_add_f64 v[4:5], v[6:7], v[4:5]
	v_add_f64 v[66:67], v[74:75], v[66:67]
	v_fma_f64 v[74:75], v[12:13], s[10:11], v[60:61]
	v_mul_f64 v[110:111], v[104:105], s[0:1]
	v_fma_f64 v[6:7], v[16:17], s[26:27], v[44:45]
	v_add_f64 v[42:43], v[102:103], v[42:43]
	v_add_f64 v[102:103], v[32:33], v[20:21]
	v_fma_f64 v[112:113], v[106:107], s[10:11], -v[68:69]
	v_fma_f64 v[60:61], v[12:13], s[10:11], -v[60:61]
	v_add_f64 v[66:67], v[108:109], v[66:67]
	v_add_f64 v[64:65], v[64:65], v[4:5]
	v_fma_f64 v[40:41], v[90:91], s[20:21], v[40:41]
	v_fma_f64 v[62:63], v[96:97], s[24:25], v[62:63]
	v_add_f64 v[42:43], v[74:75], v[42:43]
	v_fma_f64 v[74:75], v[102:103], s[26:27], -v[110:111]
	v_fma_f64 v[70:71], v[100:101], s[18:19], v[70:71]
	v_mul_f64 v[116:117], v[94:95], s[30:31]
	v_add_f64 v[66:67], v[112:113], v[66:67]
	v_mul_f64 v[112:113], v[56:57], s[30:31]
	v_add_f64 v[40:41], v[0:1], v[40:41]
	v_mul_f64 v[134:135], v[38:39], s[34:35]
	v_add_f64 v[6:7], v[6:7], v[42:43]
	v_fma_f64 v[42:43], v[16:17], s[26:27], -v[44:45]
	v_add_f64 v[44:45], v[60:61], v[64:65]
	v_mul_f64 v[64:65], v[80:81], s[16:17]
	v_add_f64 v[4:5], v[74:75], v[66:67]
	v_fma_f64 v[66:67], v[106:107], s[10:11], v[68:69]
	v_mul_f64 v[68:69], v[84:85], s[16:17]
	v_mul_f64 v[74:75], v[78:79], s[34:35]
	v_fma_f64 v[60:61], v[102:103], s[26:27], v[110:111]
	v_add_f64 v[40:41], v[62:63], v[40:41]
	v_mul_f64 v[62:63], v[88:89], s[34:35]
	v_fma_f64 v[108:109], v[86:87], s[18:19], v[64:65]
	v_fma_f64 v[64:65], v[86:87], s[18:19], -v[64:65]
	v_fma_f64 v[120:121], v[54:55], s[24:25], v[112:113]
	v_fma_f64 v[110:111], v[90:91], s[18:19], -v[68:69]
	;; [unrolled: 2-line block ×3, first 2 shown]
	v_add_f64 v[40:41], v[70:71], v[40:41]
	v_fma_f64 v[118:119], v[96:97], s[26:27], -v[62:63]
	v_add_f64 v[108:109], v[2:3], v[108:109]
	v_mul_f64 v[70:71], v[38:39], s[22:23]
	v_fma_f64 v[74:75], v[92:93], s[26:27], -v[74:75]
	v_add_f64 v[110:111], v[0:1], v[110:111]
	v_add_f64 v[64:65], v[2:3], v[64:65]
	v_fma_f64 v[68:69], v[90:91], s[18:19], v[68:69]
	v_add_f64 v[40:41], v[66:67], v[40:41]
	v_fma_f64 v[66:67], v[54:55], s[24:25], -v[112:113]
	v_add_f64 v[108:109], v[114:115], v[108:109]
	v_mul_f64 v[114:115], v[98:99], s[22:23]
	v_fma_f64 v[124:125], v[12:13], s[20:21], v[70:71]
	v_add_f64 v[110:111], v[118:119], v[110:111]
	v_mul_f64 v[118:119], v[30:31], s[8:9]
	v_add_f64 v[64:65], v[74:75], v[64:65]
	v_add_f64 v[42:43], v[42:43], v[44:45]
	v_fma_f64 v[44:45], v[12:13], s[20:21], -v[70:71]
	v_add_f64 v[108:109], v[120:121], v[108:109]
	v_mul_f64 v[120:121], v[104:105], s[8:9]
	v_fma_f64 v[126:127], v[106:107], s[20:21], -v[114:115]
	v_add_f64 v[110:111], v[122:123], v[110:111]
	v_fma_f64 v[74:75], v[16:17], s[10:11], v[118:119]
	v_add_f64 v[64:65], v[66:67], v[64:65]
	v_fma_f64 v[66:67], v[96:97], s[26:27], v[62:63]
	v_add_f64 v[68:69], v[0:1], v[68:69]
	v_add_f64 v[108:109], v[124:125], v[108:109]
	v_fma_f64 v[112:113], v[102:103], s[10:11], -v[120:121]
	v_add_f64 v[40:41], v[60:61], v[40:41]
	v_add_f64 v[110:111], v[126:127], v[110:111]
	v_fma_f64 v[70:71], v[16:17], s[10:11], -v[118:119]
	v_add_f64 v[44:45], v[44:45], v[64:65]
	v_fma_f64 v[64:65], v[100:101], s[24:25], v[116:117]
	v_add_f64 v[66:67], v[66:67], v[68:69]
	v_add_f64 v[62:63], v[74:75], v[108:109]
	v_mul_f64 v[74:75], v[80:81], s[0:1]
	v_mul_f64 v[108:109], v[84:85], s[0:1]
	v_add_f64 v[60:61], v[112:113], v[110:111]
	v_mul_f64 v[68:69], v[78:79], s[36:37]
	v_fma_f64 v[112:113], v[106:107], s[20:21], v[114:115]
	v_mul_f64 v[114:115], v[88:89], s[36:37]
	v_add_f64 v[64:65], v[64:65], v[66:67]
	v_mul_f64 v[122:123], v[94:95], s[8:9]
	v_fma_f64 v[110:111], v[86:87], s[26:27], v[74:75]
	v_fma_f64 v[116:117], v[90:91], s[26:27], -v[108:109]
	v_fma_f64 v[66:67], v[86:87], s[26:27], -v[74:75]
	v_mul_f64 v[74:75], v[56:57], s[8:9]
	v_fma_f64 v[118:119], v[92:93], s[20:21], v[68:69]
	v_fma_f64 v[124:125], v[96:97], s[20:21], -v[114:115]
	v_fma_f64 v[68:69], v[92:93], s[20:21], -v[68:69]
	v_mul_f64 v[126:127], v[38:39], s[30:31]
	v_add_f64 v[110:111], v[2:3], v[110:111]
	v_add_f64 v[116:117], v[0:1], v[116:117]
	v_add_f64 v[66:67], v[2:3], v[66:67]
	v_fma_f64 v[128:129], v[54:55], s[10:11], v[74:75]
	v_fma_f64 v[130:131], v[100:101], s[10:11], -v[122:123]
	v_fma_f64 v[74:75], v[54:55], s[10:11], -v[74:75]
	v_add_f64 v[64:65], v[112:113], v[64:65]
	s_mov_b32 s9, 0xbfed1bb4
	v_add_f64 v[110:111], v[118:119], v[110:111]
	v_mul_f64 v[118:119], v[98:99], s[30:31]
	v_add_f64 v[116:117], v[124:125], v[116:117]
	v_add_f64 v[66:67], v[68:69], v[66:67]
	v_mul_f64 v[68:69], v[30:31], s[16:17]
	v_fma_f64 v[124:125], v[12:13], s[24:25], v[126:127]
	v_fma_f64 v[126:127], v[12:13], s[24:25], -v[126:127]
	v_fma_f64 v[108:109], v[90:91], s[26:27], v[108:109]
	v_add_f64 v[110:111], v[128:129], v[110:111]
	v_mul_f64 v[128:129], v[104:105], s[16:17]
	v_fma_f64 v[132:133], v[106:107], s[24:25], -v[118:119]
	v_add_f64 v[116:117], v[130:131], v[116:117]
	v_add_f64 v[66:67], v[74:75], v[66:67]
	v_fma_f64 v[112:113], v[16:17], s[18:19], v[68:69]
	v_fma_f64 v[74:75], v[102:103], s[10:11], v[120:121]
	v_add_f64 v[108:109], v[0:1], v[108:109]
	v_add_f64 v[110:111], v[124:125], v[110:111]
	v_fma_f64 v[120:121], v[102:103], s[18:19], -v[128:129]
	v_fma_f64 v[124:125], v[16:17], s[18:19], -v[68:69]
	v_add_f64 v[116:117], v[132:133], v[116:117]
	v_add_f64 v[126:127], v[126:127], v[66:67]
	;; [unrolled: 1-line block ×3, first 2 shown]
	v_mul_f64 v[44:45], v[80:81], s[8:9]
	v_add_f64 v[64:65], v[74:75], v[64:65]
	v_add_f64 v[70:71], v[112:113], v[110:111]
	v_mul_f64 v[110:111], v[84:85], s[8:9]
	v_fma_f64 v[112:113], v[96:97], s[20:21], v[114:115]
	v_add_f64 v[68:69], v[120:121], v[116:117]
	v_add_f64 v[74:75], v[124:125], v[126:127]
	v_mul_f64 v[114:115], v[78:79], s[16:17]
	v_fma_f64 v[116:117], v[86:87], s[10:11], v[44:45]
	v_mul_f64 v[124:125], v[88:89], s[16:17]
	v_fma_f64 v[44:45], v[86:87], s[10:11], -v[44:45]
	v_fma_f64 v[126:127], v[90:91], s[10:11], -v[110:111]
	v_fma_f64 v[120:121], v[102:103], s[18:19], v[128:129]
	v_mul_f64 v[128:129], v[56:57], s[36:37]
	v_add_f64 v[108:109], v[112:113], v[108:109]
	v_fma_f64 v[130:131], v[92:93], s[18:19], v[114:115]
	v_add_f64 v[116:117], v[2:3], v[116:117]
	v_fma_f64 v[112:113], v[106:107], s[24:25], v[118:119]
	v_mul_f64 v[118:119], v[94:95], s[36:37]
	v_fma_f64 v[132:133], v[96:97], s[18:19], -v[124:125]
	v_add_f64 v[126:127], v[0:1], v[126:127]
	v_fma_f64 v[114:115], v[92:93], s[18:19], -v[114:115]
	v_add_f64 v[44:45], v[2:3], v[44:45]
	v_fma_f64 v[136:137], v[54:55], s[20:21], v[128:129]
	v_add_f64 v[116:117], v[130:131], v[116:117]
	v_fma_f64 v[128:129], v[54:55], s[20:21], -v[128:129]
	v_fma_f64 v[130:131], v[100:101], s[20:21], -v[118:119]
	v_fma_f64 v[110:111], v[90:91], s[10:11], v[110:111]
	v_add_f64 v[126:127], v[132:133], v[126:127]
	v_mul_f64 v[132:133], v[30:31], s[28:29]
	v_add_f64 v[44:45], v[114:115], v[44:45]
	v_add_f64 v[76:77], v[2:3], v[76:77]
	;; [unrolled: 1-line block ×3, first 2 shown]
	v_fma_f64 v[124:125], v[96:97], s[18:19], v[124:125]
	v_fma_f64 v[122:123], v[100:101], s[10:11], v[122:123]
	v_add_f64 v[110:111], v[0:1], v[110:111]
	v_add_f64 v[126:127], v[130:131], v[126:127]
	v_fma_f64 v[130:131], v[12:13], s[26:27], -v[134:135]
	v_add_f64 v[44:45], v[128:129], v[44:45]
	v_fma_f64 v[128:129], v[16:17], s[24:25], -v[132:133]
	v_add_f64 v[76:77], v[82:83], v[76:77]
	v_add_f64 v[58:59], v[58:59], v[72:73]
	;; [unrolled: 1-line block ×4, first 2 shown]
	v_mul_f64 v[124:125], v[56:57], s[0:1]
	v_mul_f64 v[80:81], v[80:81], s[30:31]
	v_add_f64 v[44:45], v[130:131], v[44:45]
	v_mul_f64 v[78:79], v[78:79], s[8:9]
	v_mul_f64 v[38:39], v[38:39], s[16:17]
	v_add_f64 v[48:49], v[48:49], v[58:59]
	v_add_f64 v[108:109], v[112:113], v[108:109]
	v_fma_f64 v[112:113], v[16:17], s[24:25], v[132:133]
	v_mul_f64 v[122:123], v[98:99], s[34:35]
	v_fma_f64 v[132:133], v[86:87], s[24:25], v[80:81]
	v_add_f64 v[56:57], v[128:129], v[44:45]
	v_add_f64 v[44:45], v[50:51], v[76:77]
	v_fma_f64 v[72:73], v[92:93], s[10:11], v[78:79]
	v_add_f64 v[34:35], v[34:35], v[48:49]
	v_fma_f64 v[80:81], v[86:87], s[24:25], -v[80:81]
	v_fma_f64 v[50:51], v[54:55], s[26:27], v[124:125]
	v_fma_f64 v[78:79], v[92:93], s[10:11], -v[78:79]
	v_add_f64 v[82:83], v[2:3], v[132:133]
	v_fma_f64 v[118:119], v[100:101], s[20:21], v[118:119]
	v_add_f64 v[36:37], v[36:37], v[44:45]
	v_mul_f64 v[44:45], v[84:85], s[30:31]
	v_add_f64 v[32:33], v[32:33], v[34:35]
	v_mul_f64 v[84:85], v[88:89], s[8:9]
	v_add_f64 v[2:3], v[2:3], v[80:81]
	v_fma_f64 v[138:139], v[12:13], s[26:27], v[134:135]
	v_add_f64 v[58:59], v[72:73], v[82:83]
	v_mul_f64 v[30:31], v[30:31], s[22:23]
	v_add_f64 v[28:29], v[28:29], v[36:37]
	v_fma_f64 v[34:35], v[90:91], s[24:25], v[44:45]
	v_fma_f64 v[44:45], v[90:91], s[24:25], -v[44:45]
	v_add_f64 v[20:21], v[20:21], v[32:33]
	v_mul_f64 v[36:37], v[94:95], s[0:1]
	v_fma_f64 v[80:81], v[96:97], s[10:11], v[84:85]
	v_fma_f64 v[32:33], v[96:97], s[10:11], -v[84:85]
	v_add_f64 v[48:49], v[50:51], v[58:59]
	v_add_f64 v[24:25], v[24:25], v[28:29]
	;; [unrolled: 1-line block ×5, first 2 shown]
	v_mul_f64 v[58:59], v[98:99], s[16:17]
	v_fma_f64 v[34:35], v[54:55], s[26:27], -v[124:125]
	v_add_f64 v[2:3], v[78:79], v[2:3]
	v_fma_f64 v[44:45], v[100:101], s[26:27], v[36:37]
	v_add_f64 v[24:25], v[26:27], v[24:25]
	v_add_f64 v[22:23], v[80:81], v[28:29]
	v_fma_f64 v[26:27], v[100:101], s[26:27], -v[36:37]
	v_add_f64 v[0:1], v[32:33], v[0:1]
	v_add_f64 v[18:19], v[18:19], v[20:21]
	v_fma_f64 v[82:83], v[12:13], s[18:19], v[38:39]
	v_mul_f64 v[50:51], v[104:105], s[22:23]
	v_fma_f64 v[12:13], v[12:13], s[18:19], -v[38:39]
	v_add_f64 v[14:15], v[14:15], v[24:25]
	v_add_f64 v[2:3], v[34:35], v[2:3]
	v_fma_f64 v[28:29], v[106:107], s[18:19], v[58:59]
	v_add_f64 v[20:21], v[44:45], v[22:23]
	v_add_f64 v[116:117], v[136:137], v[116:117]
	v_mul_f64 v[136:137], v[104:105], s[28:29]
	v_fma_f64 v[140:141], v[106:107], s[26:27], -v[122:123]
	v_fma_f64 v[122:123], v[106:107], s[26:27], v[122:123]
	v_add_f64 v[110:111], v[118:119], v[110:111]
	v_fma_f64 v[22:23], v[106:107], s[18:19], -v[58:59]
	v_add_f64 v[0:1], v[26:27], v[0:1]
	v_add_f64 v[10:11], v[10:11], v[14:15]
	;; [unrolled: 1-line block ×3, first 2 shown]
	v_fma_f64 v[24:25], v[16:17], s[20:21], -v[30:31]
	v_add_f64 v[2:3], v[12:13], v[2:3]
	v_fma_f64 v[12:13], v[102:103], s[20:21], v[50:51]
	v_add_f64 v[18:19], v[28:29], v[20:21]
	v_fma_f64 v[72:73], v[102:103], s[24:25], v[136:137]
	v_add_f64 v[76:77], v[122:123], v[110:111]
	v_add_f64 v[114:115], v[138:139], v[116:117]
	v_fma_f64 v[116:117], v[102:103], s[24:25], -v[136:137]
	v_add_f64 v[126:127], v[140:141], v[126:127]
	v_fma_f64 v[16:17], v[16:17], s[20:21], v[30:31]
	v_add_f64 v[20:21], v[82:83], v[48:49]
	v_fma_f64 v[26:27], v[102:103], s[20:21], -v[50:51]
	v_add_f64 v[22:23], v[22:23], v[0:1]
	v_add_f64 v[10:11], v[8:9], v[10:11]
	;; [unrolled: 1-line block ×11, first 2 shown]
	ds_write_b128 v255, v[8:11]
	ds_write_b128 v255, v[0:3] offset:2176
	ds_write_b128 v255, v[54:57] offset:4352
	ds_write_b128 v255, v[72:75] offset:6528
	ds_write_b128 v255, v[64:67] offset:8704
	ds_write_b128 v255, v[40:43] offset:10880
	ds_write_b128 v255, v[4:7] offset:13056
	ds_write_b128 v255, v[60:63] offset:15232
	ds_write_b128 v255, v[68:71] offset:17408
	ds_write_b128 v255, v[12:15] offset:19584
	ds_write_b128 v255, v[16:19] offset:21760
.LBB0_21:
	s_or_b64 exec, exec, s[2:3]
	s_waitcnt lgkmcnt(0)
	s_barrier
	s_and_b64 exec, exec, vcc
	s_cbranch_execz .LBB0_23
; %bb.22:
	global_load_dwordx4 v[0:3], v255, s[12:13]
	buffer_load_dword v22, off, s[64:67], 0 offset:20 ; 4-byte Folded Reload
	buffer_load_dword v23, off, s[64:67], 0 offset:24 ; 4-byte Folded Reload
	buffer_load_dword v26, off, s[64:67], 0 ; 4-byte Folded Reload
	ds_read_b128 v[4:7], v255
	ds_read_b128 v[8:11], v255 offset:1408
	ds_read_b128 v[16:19], v255 offset:22528
	s_mul_i32 s3, s5, 0x580
	s_mul_i32 s2, s4, 0x580
	s_waitcnt vmcnt(3) lgkmcnt(2)
	v_mul_f64 v[20:21], v[6:7], v[2:3]
	v_mul_f64 v[2:3], v[4:5], v[2:3]
	s_waitcnt vmcnt(2)
	v_mad_u64_u32 v[12:13], s[0:1], s6, v22, 0
	s_waitcnt vmcnt(0)
	v_mad_u64_u32 v[14:15], s[0:1], s4, v26, 0
	s_mul_hi_u32 s6, s4, 0x580
	s_add_i32 s3, s6, s3
	v_fma_f64 v[4:5], v[4:5], v[0:1], v[20:21]
	v_fma_f64 v[2:3], v[0:1], v[6:7], -v[2:3]
	v_mad_u64_u32 v[22:23], s[0:1], s7, v22, v[13:14]
	s_waitcnt lgkmcnt(0)
	v_mad_u64_u32 v[23:24], s[0:1], s5, v26, v[15:16]
	s_mov_b32 s0, 0xb8d015e7
	s_mov_b32 s1, 0x3f45e75b
	v_mul_f64 v[0:1], v[4:5], s[0:1]
	v_mul_f64 v[2:3], v[2:3], s[0:1]
	v_mov_b32_e32 v13, v22
	v_lshlrev_b64 v[6:7], 4, v[12:13]
	v_mov_b32_e32 v15, v23
	v_mov_b32_e32 v20, s15
	v_lshlrev_b64 v[12:13], 4, v[14:15]
	v_add_co_u32_e32 v22, vcc, s14, v6
	v_addc_co_u32_e32 v23, vcc, v20, v7, vcc
	v_add_co_u32_e32 v4, vcc, v22, v12
	v_addc_co_u32_e32 v5, vcc, v23, v13, vcc
	global_store_dwordx4 v[4:5], v[0:3], off
	global_load_dwordx4 v[0:3], v255, s[12:13] offset:1408
	v_add_co_u32_e32 v12, vcc, s2, v4
	v_mov_b32_e32 v20, s13
	s_movk_i32 s6, 0x1000
	s_waitcnt vmcnt(0)
	v_mul_f64 v[6:7], v[10:11], v[2:3]
	v_mul_f64 v[2:3], v[8:9], v[2:3]
	v_fma_f64 v[6:7], v[8:9], v[0:1], v[6:7]
	v_fma_f64 v[2:3], v[0:1], v[10:11], -v[2:3]
	v_mul_f64 v[0:1], v[6:7], s[0:1]
	v_mul_f64 v[2:3], v[2:3], s[0:1]
	v_mov_b32_e32 v6, s3
	v_addc_co_u32_e32 v13, vcc, v5, v6, vcc
	v_add_co_u32_e32 v24, vcc, s12, v255
	v_addc_co_u32_e32 v25, vcc, 0, v20, vcc
	global_store_dwordx4 v[12:13], v[0:3], off
	global_load_dwordx4 v[0:3], v255, s[12:13] offset:2816
	ds_read_b128 v[4:7], v255 offset:2816
	ds_read_b128 v[8:11], v255 offset:4224
	s_waitcnt vmcnt(0) lgkmcnt(1)
	v_mul_f64 v[14:15], v[6:7], v[2:3]
	v_mul_f64 v[2:3], v[4:5], v[2:3]
	v_fma_f64 v[4:5], v[4:5], v[0:1], v[14:15]
	v_fma_f64 v[2:3], v[0:1], v[6:7], -v[2:3]
	v_add_co_u32_e32 v14, vcc, s6, v24
	v_addc_co_u32_e32 v15, vcc, 0, v25, vcc
	v_mov_b32_e32 v6, s3
	s_movk_i32 s6, 0x2000
	v_mul_f64 v[0:1], v[4:5], s[0:1]
	v_mul_f64 v[2:3], v[2:3], s[0:1]
	v_add_co_u32_e32 v4, vcc, s2, v12
	v_addc_co_u32_e32 v5, vcc, v13, v6, vcc
	v_add_co_u32_e32 v12, vcc, s2, v4
	global_store_dwordx4 v[4:5], v[0:3], off
	global_load_dwordx4 v[0:3], v[14:15], off offset:128
	s_waitcnt vmcnt(0) lgkmcnt(0)
	v_mul_f64 v[6:7], v[10:11], v[2:3]
	v_mul_f64 v[2:3], v[8:9], v[2:3]
	v_fma_f64 v[6:7], v[8:9], v[0:1], v[6:7]
	v_fma_f64 v[2:3], v[0:1], v[10:11], -v[2:3]
	v_mul_f64 v[0:1], v[6:7], s[0:1]
	v_mul_f64 v[2:3], v[2:3], s[0:1]
	v_mov_b32_e32 v6, s3
	v_addc_co_u32_e32 v13, vcc, v5, v6, vcc
	global_store_dwordx4 v[12:13], v[0:3], off
	global_load_dwordx4 v[0:3], v[14:15], off offset:1536
	ds_read_b128 v[4:7], v255 offset:5632
	ds_read_b128 v[8:11], v255 offset:7040
	s_waitcnt vmcnt(0) lgkmcnt(1)
	v_mul_f64 v[20:21], v[6:7], v[2:3]
	v_mul_f64 v[2:3], v[4:5], v[2:3]
	v_fma_f64 v[4:5], v[4:5], v[0:1], v[20:21]
	v_fma_f64 v[2:3], v[0:1], v[6:7], -v[2:3]
	v_mul_f64 v[0:1], v[4:5], s[0:1]
	v_mul_f64 v[2:3], v[2:3], s[0:1]
	v_mov_b32_e32 v5, s3
	v_add_co_u32_e32 v4, vcc, s2, v12
	v_addc_co_u32_e32 v5, vcc, v13, v5, vcc
	v_add_co_u32_e32 v12, vcc, s6, v24
	global_store_dwordx4 v[4:5], v[0:3], off
	global_load_dwordx4 v[0:3], v[14:15], off offset:2944
	v_addc_co_u32_e32 v13, vcc, 0, v25, vcc
	v_add_co_u32_e32 v14, vcc, s2, v4
	s_movk_i32 s6, 0x3000
	s_waitcnt vmcnt(0) lgkmcnt(0)
	v_mul_f64 v[6:7], v[10:11], v[2:3]
	v_mul_f64 v[2:3], v[8:9], v[2:3]
	v_fma_f64 v[6:7], v[8:9], v[0:1], v[6:7]
	v_fma_f64 v[2:3], v[0:1], v[10:11], -v[2:3]
	v_mov_b32_e32 v8, s3
	v_addc_co_u32_e32 v15, vcc, v5, v8, vcc
	v_mul_f64 v[0:1], v[6:7], s[0:1]
	v_mul_f64 v[2:3], v[2:3], s[0:1]
	global_store_dwordx4 v[14:15], v[0:3], off
	global_load_dwordx4 v[0:3], v[12:13], off offset:256
	ds_read_b128 v[4:7], v255 offset:8448
	ds_read_b128 v[8:11], v255 offset:9856
	s_waitcnt vmcnt(0) lgkmcnt(1)
	v_mul_f64 v[20:21], v[6:7], v[2:3]
	v_mul_f64 v[2:3], v[4:5], v[2:3]
	v_fma_f64 v[4:5], v[4:5], v[0:1], v[20:21]
	v_fma_f64 v[2:3], v[0:1], v[6:7], -v[2:3]
	v_mul_f64 v[0:1], v[4:5], s[0:1]
	v_mul_f64 v[2:3], v[2:3], s[0:1]
	v_mov_b32_e32 v5, s3
	v_add_co_u32_e32 v4, vcc, s2, v14
	v_addc_co_u32_e32 v5, vcc, v15, v5, vcc
	v_add_co_u32_e32 v14, vcc, s2, v4
	global_store_dwordx4 v[4:5], v[0:3], off
	global_load_dwordx4 v[0:3], v[12:13], off offset:1664
	s_waitcnt vmcnt(0) lgkmcnt(0)
	v_mul_f64 v[6:7], v[10:11], v[2:3]
	v_mul_f64 v[2:3], v[8:9], v[2:3]
	v_fma_f64 v[6:7], v[8:9], v[0:1], v[6:7]
	v_fma_f64 v[2:3], v[0:1], v[10:11], -v[2:3]
	v_mul_f64 v[0:1], v[6:7], s[0:1]
	v_mul_f64 v[2:3], v[2:3], s[0:1]
	v_mov_b32_e32 v6, s3
	v_addc_co_u32_e32 v15, vcc, v5, v6, vcc
	global_store_dwordx4 v[14:15], v[0:3], off
	global_load_dwordx4 v[0:3], v[12:13], off offset:3072
	ds_read_b128 v[4:7], v255 offset:11264
	ds_read_b128 v[8:11], v255 offset:12672
	s_waitcnt vmcnt(0) lgkmcnt(1)
	v_mul_f64 v[12:13], v[6:7], v[2:3]
	v_mul_f64 v[2:3], v[4:5], v[2:3]
	v_fma_f64 v[4:5], v[4:5], v[0:1], v[12:13]
	v_fma_f64 v[2:3], v[0:1], v[6:7], -v[2:3]
	v_add_co_u32_e32 v12, vcc, s6, v24
	v_addc_co_u32_e32 v13, vcc, 0, v25, vcc
	v_mov_b32_e32 v6, s3
	s_movk_i32 s6, 0x4000
	v_mul_f64 v[0:1], v[4:5], s[0:1]
	v_mul_f64 v[2:3], v[2:3], s[0:1]
	v_add_co_u32_e32 v4, vcc, s2, v14
	v_addc_co_u32_e32 v5, vcc, v15, v6, vcc
	v_add_co_u32_e32 v14, vcc, s2, v4
	global_store_dwordx4 v[4:5], v[0:3], off
	global_load_dwordx4 v[0:3], v[12:13], off offset:384
	s_waitcnt vmcnt(0) lgkmcnt(0)
	v_mul_f64 v[6:7], v[10:11], v[2:3]
	v_mul_f64 v[2:3], v[8:9], v[2:3]
	v_fma_f64 v[6:7], v[8:9], v[0:1], v[6:7]
	v_fma_f64 v[2:3], v[0:1], v[10:11], -v[2:3]
	v_mul_f64 v[0:1], v[6:7], s[0:1]
	v_mul_f64 v[2:3], v[2:3], s[0:1]
	v_mov_b32_e32 v6, s3
	v_addc_co_u32_e32 v15, vcc, v5, v6, vcc
	global_store_dwordx4 v[14:15], v[0:3], off
	global_load_dwordx4 v[0:3], v[12:13], off offset:1792
	ds_read_b128 v[4:7], v255 offset:14080
	ds_read_b128 v[8:11], v255 offset:15488
	s_waitcnt vmcnt(0) lgkmcnt(1)
	v_mul_f64 v[20:21], v[6:7], v[2:3]
	v_mul_f64 v[2:3], v[4:5], v[2:3]
	v_fma_f64 v[4:5], v[4:5], v[0:1], v[20:21]
	v_fma_f64 v[2:3], v[0:1], v[6:7], -v[2:3]
	v_mul_f64 v[0:1], v[4:5], s[0:1]
	v_mul_f64 v[2:3], v[2:3], s[0:1]
	v_mov_b32_e32 v5, s3
	v_add_co_u32_e32 v4, vcc, s2, v14
	v_addc_co_u32_e32 v5, vcc, v15, v5, vcc
	global_store_dwordx4 v[4:5], v[0:3], off
	global_load_dwordx4 v[0:3], v[12:13], off offset:3200
	v_add_co_u32_e32 v12, vcc, s6, v24
	v_addc_co_u32_e32 v13, vcc, 0, v25, vcc
	v_add_co_u32_e32 v14, vcc, s2, v4
	s_movk_i32 s6, 0x5000
	s_waitcnt vmcnt(0) lgkmcnt(0)
	v_mul_f64 v[6:7], v[10:11], v[2:3]
	v_mul_f64 v[2:3], v[8:9], v[2:3]
	v_fma_f64 v[6:7], v[8:9], v[0:1], v[6:7]
	v_fma_f64 v[2:3], v[0:1], v[10:11], -v[2:3]
	v_mov_b32_e32 v8, s3
	v_addc_co_u32_e32 v15, vcc, v5, v8, vcc
	v_mul_f64 v[0:1], v[6:7], s[0:1]
	v_mul_f64 v[2:3], v[2:3], s[0:1]
	global_store_dwordx4 v[14:15], v[0:3], off
	global_load_dwordx4 v[0:3], v[12:13], off offset:512
	ds_read_b128 v[4:7], v255 offset:16896
	ds_read_b128 v[8:11], v255 offset:18304
	s_waitcnt vmcnt(0) lgkmcnt(1)
	v_mul_f64 v[20:21], v[6:7], v[2:3]
	v_mul_f64 v[2:3], v[4:5], v[2:3]
	v_fma_f64 v[4:5], v[4:5], v[0:1], v[20:21]
	v_fma_f64 v[2:3], v[0:1], v[6:7], -v[2:3]
	v_mul_f64 v[0:1], v[4:5], s[0:1]
	v_mul_f64 v[2:3], v[2:3], s[0:1]
	v_mov_b32_e32 v5, s3
	v_add_co_u32_e32 v4, vcc, s2, v14
	v_addc_co_u32_e32 v5, vcc, v15, v5, vcc
	v_add_co_u32_e32 v14, vcc, s2, v4
	global_store_dwordx4 v[4:5], v[0:3], off
	global_load_dwordx4 v[0:3], v[12:13], off offset:1920
	s_waitcnt vmcnt(0) lgkmcnt(0)
	v_mul_f64 v[6:7], v[10:11], v[2:3]
	v_mul_f64 v[2:3], v[8:9], v[2:3]
	v_fma_f64 v[6:7], v[8:9], v[0:1], v[6:7]
	v_fma_f64 v[2:3], v[0:1], v[10:11], -v[2:3]
	v_mul_f64 v[0:1], v[6:7], s[0:1]
	v_mul_f64 v[2:3], v[2:3], s[0:1]
	v_mov_b32_e32 v6, s3
	v_addc_co_u32_e32 v15, vcc, v5, v6, vcc
	global_store_dwordx4 v[14:15], v[0:3], off
	global_load_dwordx4 v[0:3], v[12:13], off offset:3328
	ds_read_b128 v[4:7], v255 offset:19712
	ds_read_b128 v[8:11], v255 offset:21120
	s_waitcnt vmcnt(0) lgkmcnt(1)
	v_mul_f64 v[12:13], v[6:7], v[2:3]
	v_mul_f64 v[2:3], v[4:5], v[2:3]
	v_fma_f64 v[4:5], v[4:5], v[0:1], v[12:13]
	v_fma_f64 v[2:3], v[0:1], v[6:7], -v[2:3]
	v_mov_b32_e32 v7, s3
	v_mul_f64 v[0:1], v[4:5], s[0:1]
	v_mul_f64 v[2:3], v[2:3], s[0:1]
	v_add_co_u32_e32 v4, vcc, s6, v24
	v_addc_co_u32_e32 v5, vcc, 0, v25, vcc
	v_add_co_u32_e32 v6, vcc, s2, v14
	v_addc_co_u32_e32 v7, vcc, v15, v7, vcc
	global_store_dwordx4 v[6:7], v[0:3], off
	global_load_dwordx4 v[0:3], v[4:5], off offset:640
	s_waitcnt vmcnt(0) lgkmcnt(0)
	v_mul_f64 v[4:5], v[10:11], v[2:3]
	v_mul_f64 v[2:3], v[8:9], v[2:3]
	v_fma_f64 v[4:5], v[8:9], v[0:1], v[4:5]
	v_fma_f64 v[2:3], v[0:1], v[10:11], -v[2:3]
	v_or_b32_e32 v8, 0x580, v26
	v_lshlrev_b32_e32 v9, 4, v8
	v_mul_f64 v[0:1], v[4:5], s[0:1]
	v_mul_f64 v[2:3], v[2:3], s[0:1]
	v_mov_b32_e32 v5, s3
	v_add_co_u32_e32 v4, vcc, s2, v6
	v_addc_co_u32_e32 v5, vcc, v7, v5, vcc
	v_mad_u64_u32 v[6:7], s[2:3], s4, v8, 0
	global_store_dwordx4 v[4:5], v[0:3], off
	global_load_dwordx4 v[0:3], v9, s[12:13]
	s_waitcnt vmcnt(0)
	v_mul_f64 v[4:5], v[18:19], v[2:3]
	v_mul_f64 v[2:3], v[16:17], v[2:3]
	v_fma_f64 v[4:5], v[16:17], v[0:1], v[4:5]
	v_fma_f64 v[2:3], v[0:1], v[18:19], -v[2:3]
	v_mov_b32_e32 v0, v7
	v_mad_u64_u32 v[7:8], s[2:3], s5, v8, v[0:1]
	v_mul_f64 v[0:1], v[4:5], s[0:1]
	v_mul_f64 v[2:3], v[2:3], s[0:1]
	v_lshlrev_b64 v[4:5], 4, v[6:7]
	v_add_co_u32_e32 v4, vcc, v22, v4
	v_addc_co_u32_e32 v5, vcc, v23, v5, vcc
	global_store_dwordx4 v[4:5], v[0:3], off
.LBB0_23:
	s_endpgm
	.section	.rodata,"a",@progbits
	.p2align	6, 0x0
	.amdhsa_kernel bluestein_single_back_len1496_dim1_dp_op_CI_CI
		.amdhsa_group_segment_fixed_size 23936
		.amdhsa_private_segment_fixed_size 560
		.amdhsa_kernarg_size 104
		.amdhsa_user_sgpr_count 6
		.amdhsa_user_sgpr_private_segment_buffer 1
		.amdhsa_user_sgpr_dispatch_ptr 0
		.amdhsa_user_sgpr_queue_ptr 0
		.amdhsa_user_sgpr_kernarg_segment_ptr 1
		.amdhsa_user_sgpr_dispatch_id 0
		.amdhsa_user_sgpr_flat_scratch_init 0
		.amdhsa_user_sgpr_private_segment_size 0
		.amdhsa_uses_dynamic_stack 0
		.amdhsa_system_sgpr_private_segment_wavefront_offset 1
		.amdhsa_system_sgpr_workgroup_id_x 1
		.amdhsa_system_sgpr_workgroup_id_y 0
		.amdhsa_system_sgpr_workgroup_id_z 0
		.amdhsa_system_sgpr_workgroup_info 0
		.amdhsa_system_vgpr_workitem_id 0
		.amdhsa_next_free_vgpr 256
		.amdhsa_next_free_sgpr 68
		.amdhsa_reserve_vcc 1
		.amdhsa_reserve_flat_scratch 0
		.amdhsa_float_round_mode_32 0
		.amdhsa_float_round_mode_16_64 0
		.amdhsa_float_denorm_mode_32 3
		.amdhsa_float_denorm_mode_16_64 3
		.amdhsa_dx10_clamp 1
		.amdhsa_ieee_mode 1
		.amdhsa_fp16_overflow 0
		.amdhsa_exception_fp_ieee_invalid_op 0
		.amdhsa_exception_fp_denorm_src 0
		.amdhsa_exception_fp_ieee_div_zero 0
		.amdhsa_exception_fp_ieee_overflow 0
		.amdhsa_exception_fp_ieee_underflow 0
		.amdhsa_exception_fp_ieee_inexact 0
		.amdhsa_exception_int_div_zero 0
	.end_amdhsa_kernel
	.text
.Lfunc_end0:
	.size	bluestein_single_back_len1496_dim1_dp_op_CI_CI, .Lfunc_end0-bluestein_single_back_len1496_dim1_dp_op_CI_CI
                                        ; -- End function
	.section	.AMDGPU.csdata,"",@progbits
; Kernel info:
; codeLenInByte = 29920
; NumSgprs: 72
; NumVgprs: 256
; ScratchSize: 560
; MemoryBound: 0
; FloatMode: 240
; IeeeMode: 1
; LDSByteSize: 23936 bytes/workgroup (compile time only)
; SGPRBlocks: 8
; VGPRBlocks: 63
; NumSGPRsForWavesPerEU: 72
; NumVGPRsForWavesPerEU: 256
; Occupancy: 1
; WaveLimiterHint : 1
; COMPUTE_PGM_RSRC2:SCRATCH_EN: 1
; COMPUTE_PGM_RSRC2:USER_SGPR: 6
; COMPUTE_PGM_RSRC2:TRAP_HANDLER: 0
; COMPUTE_PGM_RSRC2:TGID_X_EN: 1
; COMPUTE_PGM_RSRC2:TGID_Y_EN: 0
; COMPUTE_PGM_RSRC2:TGID_Z_EN: 0
; COMPUTE_PGM_RSRC2:TIDIG_COMP_CNT: 0
	.type	__hip_cuid_f7b42fd09a7f5492,@object ; @__hip_cuid_f7b42fd09a7f5492
	.section	.bss,"aw",@nobits
	.globl	__hip_cuid_f7b42fd09a7f5492
__hip_cuid_f7b42fd09a7f5492:
	.byte	0                               ; 0x0
	.size	__hip_cuid_f7b42fd09a7f5492, 1

	.ident	"AMD clang version 19.0.0git (https://github.com/RadeonOpenCompute/llvm-project roc-6.4.0 25133 c7fe45cf4b819c5991fe208aaa96edf142730f1d)"
	.section	".note.GNU-stack","",@progbits
	.addrsig
	.addrsig_sym __hip_cuid_f7b42fd09a7f5492
	.amdgpu_metadata
---
amdhsa.kernels:
  - .args:
      - .actual_access:  read_only
        .address_space:  global
        .offset:         0
        .size:           8
        .value_kind:     global_buffer
      - .actual_access:  read_only
        .address_space:  global
        .offset:         8
        .size:           8
        .value_kind:     global_buffer
      - .actual_access:  read_only
        .address_space:  global
        .offset:         16
        .size:           8
        .value_kind:     global_buffer
      - .actual_access:  read_only
        .address_space:  global
        .offset:         24
        .size:           8
        .value_kind:     global_buffer
      - .actual_access:  read_only
        .address_space:  global
        .offset:         32
        .size:           8
        .value_kind:     global_buffer
      - .offset:         40
        .size:           8
        .value_kind:     by_value
      - .address_space:  global
        .offset:         48
        .size:           8
        .value_kind:     global_buffer
      - .address_space:  global
        .offset:         56
        .size:           8
        .value_kind:     global_buffer
      - .address_space:  global
        .offset:         64
        .size:           8
        .value_kind:     global_buffer
      - .address_space:  global
        .offset:         72
        .size:           8
        .value_kind:     global_buffer
      - .offset:         80
        .size:           4
        .value_kind:     by_value
      - .address_space:  global
        .offset:         88
        .size:           8
        .value_kind:     global_buffer
      - .address_space:  global
        .offset:         96
        .size:           8
        .value_kind:     global_buffer
    .group_segment_fixed_size: 23936
    .kernarg_segment_align: 8
    .kernarg_segment_size: 104
    .language:       OpenCL C
    .language_version:
      - 2
      - 0
    .max_flat_workgroup_size: 187
    .name:           bluestein_single_back_len1496_dim1_dp_op_CI_CI
    .private_segment_fixed_size: 560
    .sgpr_count:     72
    .sgpr_spill_count: 0
    .symbol:         bluestein_single_back_len1496_dim1_dp_op_CI_CI.kd
    .uniform_work_group_size: 1
    .uses_dynamic_stack: false
    .vgpr_count:     256
    .vgpr_spill_count: 164
    .wavefront_size: 64
amdhsa.target:   amdgcn-amd-amdhsa--gfx906
amdhsa.version:
  - 1
  - 2
...

	.end_amdgpu_metadata
